;; amdgpu-corpus repo=ROCm/aiter kind=harvested arch=n/a opt=n/a

/root/src/amdgpu-assembly/repos/ROCm__aiter/hsa/gfx950/mla/mla_pfl_qh192_vh128_m32x8_n128x1_causal0.co:	file format elf64-amdgpu

Disassembly of section .text:

0000000000002400 <_ZN5aiter40mla_pfl_qh192_vh128_m32x8_n128x1_causal0E>:
	s_and_b32 s1, s1, 0xffff                                   // 000000002400: 8601FF01 0000FFFF
	s_load_dwordx2 s[4:5], s[0:1], 0x0                         // 000000002408: C0060100 00000000
	s_load_dwordx2 s[8:9], s[0:1], 0x10                        // 000000002410: C0060200 00000010
	s_load_dwordx2 s[12:13], s[0:1], 0x20                      // 000000002418: C0060300 00000020
	s_load_dwordx2 s[16:17], s[0:1], 0x30                      // 000000002420: C0060400 00000030
	s_load_dwordx2 s[20:21], s[0:1], 0x40                      // 000000002428: C0060500 00000040
	s_load_dwordx2 s[24:25], s[0:1], 0x50                      // 000000002430: C0060600 00000050
	s_load_dwordx2 s[28:29], s[0:1], 0x60                      // 000000002438: C0060700 00000060
	s_load_dwordx2 s[32:33], s[0:1], 0x70                      // 000000002440: C0060800 00000070
	s_load_dwordx2 s[36:37], s[0:1], 0x80                      // 000000002448: C0060900 00000080
	s_load_dwordx2 s[40:41], s[0:1], 0x90                      // 000000002450: C0060A00 00000090
	s_load_dwordx2 s[44:45], s[0:1], 0xa0                      // 000000002458: C0060B00 000000A0
	s_load_dwordx2 s[48:49], s[0:1], 0xb0                      // 000000002460: C0060C00 000000B0
	s_load_dwordx2 s[50:51], s[0:1], 0xc0                      // 000000002468: C0060C80 000000C0
	s_load_dwordx2 s[52:53], s[0:1], 0xd0                      // 000000002470: C0060D00 000000D0
	s_load_dword s56, s[0:1], 0xe0                             // 000000002478: C0020E00 000000E0
	s_load_dword s57, s[0:1], 0xf0                             // 000000002480: C0020E40 000000F0
	s_load_dword s58, s[0:1], 0x100                            // 000000002488: C0020E80 00000100
	s_load_dword s59, s[0:1], 0x110                            // 000000002490: C0020EC0 00000110
	s_load_dword s60, s[0:1], 0x120                            // 000000002498: C0020F00 00000120
	v_lshrrev_b32_e32 v1, 10, v0                               // 0000000024A0: 2002008A
	v_lshrrev_b32_e32 v2, 10, v1                               // 0000000024A4: 2004028A
	v_and_b32_e32 v2, 0x3ff, v2                                // 0000000024A8: 260404FF 000003FF
	v_and_b32_e32 v1, 0x3ff, v1                                // 0000000024B0: 260202FF 000003FF
	v_and_b32_e32 v0, 0x3ff, v0                                // 0000000024B8: 260000FF 000003FF
	v_lshrrev_b32_e32 v3, 6, v0                                // 0000000024C0: 20060086
	v_and_b32_e32 v0, 63, v0                                   // 0000000024C4: 260000BF
	s_mov_b32 s63, s2                                          // 0000000024C8: BEBF0002
	v_readfirstlane_b32 s62, v3                                // 0000000024CC: 7E7C0503
	v_and_b32_e32 v192, 31, v0                                 // 0000000024D0: 2780009F
	v_lshrrev_b32_e32 v192, 2, v192                            // 0000000024D4: 21818082
	v_lshrrev_b32_e32 v193, 5, v0                              // 0000000024D8: 21820085
	v_lshlrev_b32_e32 v193, 5, v193                            // 0000000024DC: 25838285
	v_add_u32_e32 v206, v192, v193                             // 0000000024E0: 699D83C0
	v_lshrrev_b32_e32 v192, 4, v0                              // 0000000024E4: 21800084
	v_lshlrev_b32_e32 v192, 4, v192                            // 0000000024E8: 25818084
	v_lshrrev_b32_e32 v193, 3, v0                              // 0000000024EC: 21820083
	v_and_b32_e32 v193, 1, v193                                // 0000000024F0: 27838281
	v_add_u32_e32 v207, v192, v193                             // 0000000024F4: 699F83C0
	v_lshrrev_b32_e32 v192, 5, v0                              // 0000000024F8: 21800085
	v_lshlrev_b32_e32 v192, 4, v192                            // 0000000024FC: 25818084
	v_and_b32_e32 v193, 31, v0                                 // 000000002500: 2782009F
	v_lshrrev_b32_e32 v193, 3, v193                            // 000000002504: 21838283
	v_mul_i32_i24_e32 v193, 0x410, v193                        // 000000002508: 0D8382FF 00000410
	v_and_b32_e32 v194, 7, v0                                  // 000000002510: 27840087
	v_lshlrev_b32_e32 v194, 6, v194                            // 000000002514: 25858486
	v_add3_u32 v208, v192, v193, v194                          // 000000002518: D1FF00D0 070B83C0
	v_lshrrev_b32_e32 v192, 5, v0                              // 000000002520: 21800085
	v_lshlrev_b32_e32 v203, 2, v192                            // 000000002524: 25978082
	s_mul_i32 s64, s62, 32                                     // 000000002528: 9240A03E
	v_and_b32_e32 v204, 31, v0                                 // 00000000252C: 2798009F
	v_add_u32_e32 v204, s64, v204                              // 000000002530: 69999840
	s_lshr_b32 s64, s62, 1                                     // 000000002534: 8F40813E
	s_mul_i32 s64, s64, 0x30c0                                 // 000000002538: 9240FF40 000030C0
	s_add_u32 s64, s64, 0                                      // 000000002540: 80408040
	s_and_b32 s65, s62, 1                                      // 000000002544: 8641813E
	s_lshl_b32 s65, s65, 9                                     // 000000002548: 8E418941
	s_add_u32 s64, s65, s64                                    // 00000000254C: 80404041
	v_add_u32_e32 v213, s64, v208                              // 000000002550: 69ABA040
	v_add_u32_e32 v226, 0xc300, v208                           // 000000002554: 69C5A0FF 0000C300
	v_lshrrev_b32_e32 v192, 1, v0                              // 00000000255C: 21800081
	v_and_b32_e32 v192, 7, v192                                // 000000002560: 27818087
	v_and_b32_e32 v193, 1, v192                                // 000000002564: 27838081
	v_mul_i32_i24_e32 v193, 0x80, v193                         // 000000002568: 0D8382FF 00000080
	v_lshrrev_b32_e32 v192, 1, v192                            // 000000002570: 21818081
	v_mul_i32_i24_e32 v192, 0x820, v192                        // 000000002574: 0D8180FF 00000820
	v_add_u32_e32 v227, v193, v192                             // 00000000257C: 69C781C1
	v_and_b32_e32 v192, 1, v0                                  // 000000002580: 27800081
	v_mul_i32_i24_e32 v192, 8, v192                            // 000000002584: 0D818088
	v_add_u32_e32 v227, v192, v227                             // 000000002588: 69C7C7C0
	v_lshrrev_b32_e32 v192, 4, v0                              // 00000000258C: 21800084
	v_and_b32_e32 v193, 1, v192                                // 000000002590: 27838081
	v_mul_i32_i24_e32 v193, 16, v193                           // 000000002594: 0D838290
	v_add_u32_e32 v227, v193, v227                             // 000000002598: 69C7C7C1
	v_lshrrev_b32_e32 v193, 1, v192                            // 00000000259C: 21838081
	v_mul_i32_i24_e32 v193, 0x410, v193                        // 0000000025A0: 0D8382FF 00000410
	v_add_u32_e32 v227, v193, v227                             // 0000000025A8: 69C7C7C1
	v_add_u32_e32 v227, 0x18600, v227                          // 0000000025AC: 69C7C6FF 00018600
	s_lshr_b32 s64, s62, 1                                     // 0000000025B4: 8F40813E
	s_mul_i32 s64, s64, 6                                      // 0000000025B8: 92408640
	s_and_b32 s65, s62, 1                                      // 0000000025BC: 8641813E
	s_add_u32 s64, s64, s65                                    // 0000000025C0: 80404140
	s_mul_i32 s93, s64, 0x820                                  // 0000000025C4: 925DFF40 00000820
	s_add_u32 s93, 0xc300, s93                                 // 0000000025CC: 805D5DFF 0000C300
	s_and_b32 s65, s62, 3                                      // 0000000025D4: 8641833E
	s_mul_i32 s65, s65, 0x1040                                 // 0000000025D8: 9241FF41 00001040
	s_add_u32 s94, 0x18600, s65                                // 0000000025E0: 805E41FF 00018600
	v_mov_b32_e32 v205, 0xff800000                             // 0000000025E8: 7F9A02FF FF800000
	s_waitcnt lgkmcnt(0)                                       // 0000000025F0: BF8CC07F
	s_and_b32 s49, s49, 0xffff                                 // 0000000025F4: 8631FF31 0000FFFF
	s_load_dword s78, s[48:49], 0x0                            // 0000000025FC: C0021398 00000000
	s_and_b32 s51, s51, 0xffff                                 // 000000002604: 8633FF33 0000FFFF
	s_load_dword s79, s[50:51], 0x0                            // 00000000260C: C00213D9 00000000
	s_and_b32 s53, s53, 0xffff                                 // 000000002614: 8635FF35 0000FFFF
	s_load_dword s80, s[52:53], 0x0                            // 00000000261C: C002141A 00000000
	s_mul_i32 s74, s58, 0xc0                                   // 000000002624: 924AFF3A 000000C0
	s_mul_i32 s75, s58, 0x80                                   // 00000000262C: 924BFF3A 00000080
	s_mul_i32 s76, s58, 0xc0                                   // 000000002634: 924CFF3A 000000C0
	s_mul_i32 s77, s58, 0x80                                   // 00000000263C: 924DFF3A 00000080
	v_mov_b32_e32 v234, s76                                    // 000000002644: 7FD4024C
	v_mov_b32_e32 v235, s77                                    // 000000002648: 7FD6024D
	s_waitcnt lgkmcnt(0)                                       // 00000000264C: BF8CC07F
	s_lshl_b32 s64, s63, 2                                     // 000000002650: 8E40823F
	s_and_b32 s29, s29, 0xffff                                 // 000000002654: 861DFF1D 0000FFFF
	s_load_dwordx2 s[66:67], s[28:29], s64                     // 00000000265C: C004108E 00000040
	v_mov_b32_e32 v192, s56                                    // 000000002664: 7F800238
	v_mul_f32_e32 v192, s78, v192                              // 000000002668: 0B81804E
	v_mul_f32_e64 v192, v192, s79                              // 00000000266C: D10500C0 00009FC0
	v_mul_f32_e32 v193, 0x3fb8aa3b, v192                       // 000000002674: 0B8380FF 3FB8AA3B
	v_readfirstlane_b32 s56, v192                              // 00000000267C: 7E7005C0
	v_readfirstlane_b32 s54, v193                              // 000000002680: 7E6C05C1
	s_mov_b32 s55, s54                                         // 000000002684: BEB70036
	s_mov_b32 s6, 0x80000000                                   // 000000002688: BE8600FF 80000000
	s_mov_b32 s7, 0x20000                                      // 000000002690: BE8700FF 00020000
	s_and_b32 s5, s5, 0xffff                                   // 000000002698: 8605FF05 0000FFFF
	s_or_b32 s5, s5, 0                                         // 0000000026A0: 87058005
	s_mul_i32 s6, s74, s57                                     // 0000000026A4: 9206394A
	s_mov_b32 s10, 0x80000000                                  // 0000000026A8: BE8A00FF 80000000
	s_mov_b32 s11, 0x20000                                     // 0000000026B0: BE8B00FF 00020000
	s_and_b32 s9, s9, 0xffff                                   // 0000000026B8: 8609FF09 0000FFFF
	s_or_b32 s9, s9, 0                                         // 0000000026C0: 87098009
	s_mul_i32 s10, s76, s59                                    // 0000000026C4: 920A3B4C
	s_mov_b32 s14, 0x80000000                                  // 0000000026C8: BE8E00FF 80000000
	s_mov_b32 s15, 0x20000                                     // 0000000026D0: BE8F00FF 00020000
	s_and_b32 s13, s13, 0xffff                                 // 0000000026D8: 860DFF0D 0000FFFF
	s_or_b32 s13, s13, 0                                       // 0000000026E0: 870D800D
	s_mul_i32 s14, s77, s59                                    // 0000000026E4: 920E3B4D
	s_mov_b32 s18, 0x80000000                                  // 0000000026E8: BE9200FF 80000000
	s_mov_b32 s19, 0x20000                                     // 0000000026F0: BE9300FF 00020000
	s_and_b32 s17, s17, 0xffff                                 // 0000000026F8: 8611FF11 0000FFFF
	s_or_b32 s17, s17, 0                                       // 000000002700: 87118011
	s_mov_b32 s22, 0x80000000                                  // 000000002704: BE9600FF 80000000
	s_mov_b32 s23, 0x20000                                     // 00000000270C: BE9700FF 00020000
	s_and_b32 s21, s21, 0xffff                                 // 000000002714: 8615FF15 0000FFFF
	s_or_b32 s21, s21, 0                                       // 00000000271C: 87158015
	s_mov_b32 s26, 0x80000000                                  // 000000002720: BE9A00FF 80000000
	s_mov_b32 s27, 0x20000                                     // 000000002728: BE9B00FF 00020000
	s_and_b32 s25, s25, 0xffff                                 // 000000002730: 8619FF19 0000FFFF
	s_or_b32 s25, s25, 0                                       // 000000002738: 87198019
	s_and_b32 s33, s33, 0xffff                                 // 00000000273C: 8621FF21 0000FFFF
	s_and_b32 s37, s37, 0xffff                                 // 000000002744: 8625FF25 0000FFFF
	s_and_b32 s41, s41, 0xffff                                 // 00000000274C: 8629FF29 0000FFFF
	s_mov_b32 s46, 0x80000000                                  // 000000002754: BEAE00FF 80000000
	s_mov_b32 s47, 0x20000                                     // 00000000275C: BEAF00FF 00020000
	s_and_b32 s45, s45, 0xffff                                 // 000000002764: 862DFF2D 0000FFFF
	s_or_b32 s45, s45, 0                                       // 00000000276C: 872D802D
	s_lshl_b32 s46, s60, 2                                     // 000000002770: 8E2E823C
	s_lshr_b32 s64, s62, 1                                     // 000000002774: 8F40813E
	s_lshl_b32 s64, s64, 6                                     // 000000002778: 8E408640
	s_and_b32 s65, s62, 1                                      // 00000000277C: 8641813E
	s_lshl_b32 s65, s65, 4                                     // 000000002780: 8E418441
	s_add_u32 s64, s64, s65                                    // 000000002784: 80404140
	v_add_u32_e32 v192, s64, v206                              // 000000002788: 69819C40
	v_and_b32_e32 v193, 3, v0                                  // 00000000278C: 27820083
	v_lshlrev_b32_e32 v193, 4, v193                            // 000000002790: 25838284
	v_mul_i32_i24_e32 v209, s74, v192                          // 000000002794: 0DA3804A
	v_add_u32_e32 v209, v209, v193                             // 000000002798: 69A383D1
	s_lshl_b32 s65, s74, 3                                     // 00000000279C: 8E41834A
	v_add_u32_e32 v210, s65, v209                              // 0000000027A0: 69A5A241
	s_lshr_b32 s64, s62, 1                                     // 0000000027A4: 8F40813E
	s_mul_i32 s64, s64, 6                                      // 0000000027A8: 92408640
	s_and_b32 s65, s62, 1                                      // 0000000027AC: 8641813E
	s_add_u32 s64, s64, s65                                    // 0000000027B0: 80404140
	s_mul_i32 s92, s64, 0x820                                  // 0000000027B4: 925CFF40 00000820
	s_lshr_b32 s64, s62, 1                                     // 0000000027BC: 8F40813E
	s_lshl_b32 s64, s64, 6                                     // 0000000027C0: 8E408640
	s_and_b32 s65, s62, 1                                      // 0000000027C4: 8641813E
	s_lshl_b32 s65, s65, 4                                     // 0000000027C8: 8E418441
	s_add_u32 s64, s64, s65                                    // 0000000027CC: 80404140
	v_add_u32_e32 v192, s64, v206                              // 0000000027D0: 69819C40
	v_and_b32_e32 v193, 1, v0                                  // 0000000027D4: 27820081
	v_lshlrev_b32_e32 v193, 3, v193                            // 0000000027D8: 25838283
	v_and_b32_e32 v194, 3, v0                                  // 0000000027DC: 27840083
	v_lshrrev_b32_e32 v194, 1, v194                            // 0000000027E0: 21858481
	v_lshlrev_b32_e32 v194, 7, v194                            // 0000000027E4: 25858487
	v_add3_u32 v214, v192, v193, v194                          // 0000000027E8: D1FF00D6 070B83C0
	v_lshlrev_b32_e32 v214, 2, v214                            // 0000000027F0: 25ADAC82
	s_lshr_b32 s64, s62, 1                                     // 0000000027F4: 8F40813E
	s_and_b32 s64, s64, 1                                      // 0000000027F8: 86408140
	s_lshl_b32 s64, s64, 6                                     // 0000000027FC: 8E408640
	s_and_b32 s65, s62, 1                                      // 000000002800: 8641813E
	s_lshl_b32 s65, s65, 3                                     // 000000002804: 8E418341
	s_add_u32 s64, s64, s65                                    // 000000002808: 80404140
	v_add_u32_e32 v192, s64, v207                              // 00000000280C: 69819E40
	v_and_b32_e32 v193, 1, v0                                  // 000000002810: 27820081
	v_lshlrev_b32_e32 v193, 2, v193                            // 000000002814: 25838282
	v_and_b32_e32 v194, 3, v0                                  // 000000002818: 27840083
	v_lshrrev_b32_e32 v194, 1, v194                            // 00000000281C: 21858481
	v_lshlrev_b32_e32 v194, 1, v194                            // 000000002820: 25858481
	v_add3_u32 v216, v192, v193, v194                          // 000000002824: D1FF00D8 070B83C0
	v_lshlrev_b32_e32 v216, 2, v216                            // 00000000282C: 25B1B082
	s_lshl_b32 s64, s62, 5                                     // 000000002830: 8E40853E
	v_and_b32_e32 v192, 31, v0                                 // 000000002834: 2780009F
	v_add_u32_e64 v192, v192, s64                              // 000000002838: D13400C0 000081C0
	v_lshrrev_b32_e32 v193, 5, v0                              // 000000002840: 21820085
	v_mul_i32_i24_e32 v193, 16, v193                           // 000000002844: 0D838290
	s_lshl_b32 s65, s75, 1                                     // 000000002848: 8E41814B
	v_mul_i32_i24_e32 v194, s65, v192                          // 00000000284C: 0D858041
	v_add_u32_e32 v228, v193, v194                             // 000000002850: 69C985C1
	s_lshl_b32 s65, s75, 2                                     // 000000002854: 8E41824B
	v_mul_i32_i24_e32 v194, s65, v192                          // 000000002858: 0D858041
	v_add_u32_e32 v230, v193, v194                             // 00000000285C: 69CD85C1
	s_lshl_b32 s65, s58, 2                                     // 000000002860: 8E41823A
	v_mul_i32_i24_e64 v232, v192, s65                          // 000000002864: D10600E8 000083C0
	s_waitcnt lgkmcnt(0)                                       // 00000000286C: BF8CC07F

0000000000002870 <label_011C>:
	s_cmp_lt_i32 s66, s67                                      // 000000002870: BF044342
	s_cbranch_scc0 label_1B89                                  // 000000002874: BF841A6B
	s_lshl_b32 s64, s66, 5                                     // 000000002878: 8E408542
	s_load_dwordx8 s[84:91], s[32:33], s64                     // 00000000287C: C00C1510 00000040
	s_waitcnt lgkmcnt(0)                                       // 000000002884: BF8CC07F
	s_and_b32 s91, s91, 0xffff                                 // 000000002888: 865BFF5B 0000FFFF
	s_lshl_b32 s64, s84, 2                                     // 000000002890: 8E408254
	s_load_dwordx2 s[68:69], s[36:37], s64                     // 000000002894: C0041112 00000040
	s_load_dwordx2 s[70:71], s[40:41], s64                     // 00000000289C: C0041194 00000040
	v_mov_b64_e32 v[124:125], 0                                // 0000000028A4: 7EF87080
	v_mov_b64_e32 v[126:127], 0                                // 0000000028A8: 7EFC7080
	v_mov_b64_e32 v[128:129], 0                                // 0000000028AC: 7F007080
	v_mov_b64_e32 v[130:131], 0                                // 0000000028B0: 7F047080
	v_mov_b64_e32 v[132:133], 0                                // 0000000028B4: 7F087080
	v_mov_b64_e32 v[134:135], 0                                // 0000000028B8: 7F0C7080
	v_mov_b64_e32 v[136:137], 0                                // 0000000028BC: 7F107080
	v_mov_b64_e32 v[138:139], 0                                // 0000000028C0: 7F147080
	v_mov_b64_e32 v[140:141], 0                                // 0000000028C4: 7F187080
	v_mov_b64_e32 v[142:143], 0                                // 0000000028C8: 7F1C7080
	v_mov_b64_e32 v[144:145], 0                                // 0000000028CC: 7F207080
	v_mov_b64_e32 v[146:147], 0                                // 0000000028D0: 7F247080
	v_mov_b64_e32 v[148:149], 0                                // 0000000028D4: 7F287080
	v_mov_b64_e32 v[150:151], 0                                // 0000000028D8: 7F2C7080
	v_mov_b64_e32 v[152:153], 0                                // 0000000028DC: 7F307080
	v_mov_b64_e32 v[154:155], 0                                // 0000000028E0: 7F347080
	v_mov_b64_e32 v[156:157], 0                                // 0000000028E4: 7F387080
	v_mov_b64_e32 v[158:159], 0                                // 0000000028E8: 7F3C7080
	v_mov_b64_e32 v[160:161], 0                                // 0000000028EC: 7F407080
	v_mov_b64_e32 v[162:163], 0                                // 0000000028F0: 7F447080
	v_mov_b64_e32 v[164:165], 0                                // 0000000028F4: 7F487080
	v_mov_b64_e32 v[166:167], 0                                // 0000000028F8: 7F4C7080
	v_mov_b64_e32 v[168:169], 0                                // 0000000028FC: 7F507080
	v_mov_b64_e32 v[170:171], 0                                // 000000002900: 7F547080
	v_mov_b64_e32 v[172:173], 0                                // 000000002904: 7F587080
	v_mov_b64_e32 v[174:175], 0                                // 000000002908: 7F5C7080
	v_mov_b64_e32 v[176:177], 0                                // 00000000290C: 7F607080
	v_mov_b64_e32 v[178:179], 0                                // 000000002910: 7F647080
	v_mov_b64_e32 v[180:181], 0                                // 000000002914: 7F687080
	v_mov_b64_e32 v[182:183], 0                                // 000000002918: 7F6C7080
	v_mov_b64_e32 v[184:185], 0                                // 00000000291C: 7F707080
	v_mov_b64_e32 v[186:187], 0                                // 000000002920: 7F747080
	v_mov_b32_e32 v200, 0xff7fffff                             // 000000002924: 7F9002FF FF7FFFFF
	v_mov_b64_e32 v[196:197], 0                                // 00000000292C: 7F887080
	v_mov_b64_e32 v[198:199], 0                                // 000000002930: 7F8C7080
	s_waitcnt lgkmcnt(0)                                       // 000000002934: BF8CC07F
	s_sub_i32 s72, s88, s70                                    // 000000002938: 81C84658
	s_sub_i32 s89, s89, s70                                    // 00000000293C: 81D94659
	s_cmp_lt_i32 s62, 4                                        // 000000002940: BF04843E
	s_cbranch_scc0 label_06A8                                  // 000000002944: BF840556
	s_setprio 1                                                // 000000002948: BF8F0001
	s_lshl_b32 s64, s88, 2                                     // 00000000294C: 8E408258
	v_add_u32_e32 v215, s64, v214                              // 000000002950: 69AFAC40
	buffer_load_dword v188, v215, s[44:47], 0 offen            // 000000002954: E0501000 800BBCD7
	v_add_u32_e32 v215, 0x400, v215                            // 00000000295C: 69AFAEFF 00000400
	s_mul_i32 s64, s86, s74                                    // 000000002964: 92404A56
	s_mul_i32 s65, s91, 0xc0                                   // 000000002968: 9241FF5B 000000C0
	s_add_u32 s64, s64, s65                                    // 000000002970: 80404140
	v_add_u32_e32 v211, s64, v209                              // 000000002974: 69A7A240
	v_add_u32_e32 v212, s64, v210                              // 000000002978: 69A9A440
	s_add_u32 m0, s92, 0                                       // 00000000297C: 807C805C
	buffer_load_dwordx4 v211, s[4:7], 0 offen lds              // 000000002980: E05D1000 800100D3
	s_add_u32 m0, s92, 0x410                                   // 000000002988: 807CFF5C 00000410
	buffer_load_dwordx4 v212, s[4:7], 0 offen lds              // 000000002990: E05D1000 800100D4
	s_add_u32 m0, s92, 0x1000                                  // 000000002998: 807CFF5C 00001000
	buffer_load_dwordx4 v211, s[4:7], 0 offen offset:64 lds    // 0000000029A0: E05D1040 800100D3
	s_add_u32 m0, s92, 0x1410                                  // 0000000029A8: 807CFF5C 00001410
	buffer_load_dwordx4 v212, s[4:7], 0 offen offset:64 lds    // 0000000029B0: E05D1040 800100D4
	s_add_u32 m0, s92, 0x2000                                  // 0000000029B8: 807CFF5C 00002000
	buffer_load_dwordx4 v211, s[4:7], 0 offen offset:128 lds   // 0000000029C0: E05D1080 800100D3
	s_add_u32 m0, s92, 0x2410                                  // 0000000029C8: 807CFF5C 00002410
	buffer_load_dwordx4 v212, s[4:7], 0 offen offset:128 lds   // 0000000029D0: E05D1080 800100D4
	v_mov_b32_e32 v202, s89                                    // 0000000029D8: 7F940259
	s_and_b32 s73, s89, 0xffffff80                             // 0000000029DC: 8649FF59 FFFFFF80
	s_mul_i32 s64, s86, s75                                    // 0000000029E4: 92404B56
	s_mul_i32 s65, s91, 0x80                                   // 0000000029E8: 9241FF5B 00000080
	s_add_u32 s64, s64, s65                                    // 0000000029F0: 80404140
	s_lshl_b32 s64, s64, 1                                     // 0000000029F4: 8E408140
	v_add_u32_e32 v229, s64, v228                              // 0000000029F8: 69CBC840
	s_mul_i32 s64, s87, s75                                    // 0000000029FC: 92404B57
	s_lshl_b32 s18, s64, 1                                     // 000000002A00: 8E128140
	s_mul_i32 s64, s91, 0x80                                   // 000000002A04: 9240FF5B 00000080
	s_mul_i32 s65, s85, s75                                    // 000000002A0C: 92414B55
	s_add_u32 s65, s64, s65                                    // 000000002A10: 80414140
	s_lshl_b32 s64, s65, 2                                     // 000000002A14: 8E408241
	v_add_u32_e32 v231, s64, v230                              // 000000002A18: 69CFCC40
	s_mul_i32 s65, s85, s58                                    // 000000002A1C: 92413A55
	s_add_i32 s64, s91, s65                                    // 000000002A20: 8140415B
	s_lshl_b32 s64, s64, 2                                     // 000000002A24: 8E408240
	v_add_u32_e32 v233, s64, v232                              // 000000002A28: 69D3D040
	s_mul_i32 s64, s91, 0xc0                                   // 000000002A2C: 9240FF5B 000000C0
	v_and_b32_e32 v192, 3, v0                                  // 000000002A34: 27800083
	v_lshlrev_b32_e32 v192, 4, v192                            // 000000002A38: 25818084
	v_add_u32_e32 v218, s64, v192                              // 000000002A3C: 69B58040
	s_waitcnt vmcnt(6)                                         // 000000002A40: BF8C0F76
	v_mul_i32_i24_dpp v192, v188, v234 quad_perm:[0,0,0,0] row_mask:0xf bank_mask:0xf// 000000002A44: 0D81D4FA FF0000BC
	v_mul_i32_i24_dpp v193, v188, v234 quad_perm:[1,1,1,1] row_mask:0xf bank_mask:0xf// 000000002A4C: 0D83D4FA FF0055BC
	v_add_u32_e32 v219, v218, v192                             // 000000002A54: 69B781DA
	v_add_u32_e32 v220, v218, v193                             // 000000002A58: 69B983DA
	s_add_u32 m0, s93, 0                                       // 000000002A5C: 807C805D
	buffer_load_dwordx4 v219, s[8:11], 0 offen lds             // 000000002A60: E05D1000 800200DB
	s_add_u32 m0, s93, 0x410                                   // 000000002A68: 807CFF5D 00000410
	buffer_load_dwordx4 v220, s[8:11], 0 offen lds             // 000000002A70: E05D1000 800200DC
	s_add_u32 m0, s93, 0x1000                                  // 000000002A78: 807CFF5D 00001000
	buffer_load_dwordx4 v219, s[8:11], 0 offen offset:64 lds   // 000000002A80: E05D1040 800200DB
	s_add_u32 m0, s93, 0x1410                                  // 000000002A88: 807CFF5D 00001410
	buffer_load_dwordx4 v220, s[8:11], 0 offen offset:64 lds   // 000000002A90: E05D1040 800200DC
	s_add_u32 m0, s93, 0x2000                                  // 000000002A98: 807CFF5D 00002000
	buffer_load_dwordx4 v219, s[8:11], 0 offen offset:128 lds  // 000000002AA0: E05D1080 800200DB
	s_add_u32 m0, s93, 0x2410                                  // 000000002AA8: 807CFF5D 00002410
	buffer_load_dwordx4 v220, s[8:11], 0 offen offset:128 lds  // 000000002AB0: E05D1080 800200DC
	s_waitcnt vmcnt(6)                                         // 000000002AB8: BF8C0F76
	s_barrier                                                  // 000000002ABC: BF8A0000
	ds_read_b128 v[4:7], v213                                  // 000000002AC0: D9FE0000 040000D5
	ds_read_b128 v[8:11], v213 offset:32                       // 000000002AC8: D9FE0020 080000D5
	ds_read_b128 v[12:15], v213 offset:4160                    // 000000002AD0: D9FE1040 0C0000D5
	ds_read_b128 v[16:19], v213 offset:4192                    // 000000002AD8: D9FE1060 100000D5
	ds_read_b128 v[20:23], v213 offset:8320                    // 000000002AE0: D9FE2080 140000D5
	ds_read_b128 v[24:27], v213 offset:8352                    // 000000002AE8: D9FE20A0 180000D5
	s_waitcnt vmcnt(0)                                         // 000000002AF0: BF8C0F70
	s_barrier                                                  // 000000002AF4: BF8A0000
	ds_read_b128 v[28:31], v226                                // 000000002AF8: D9FE0000 1C0000E2
	ds_read_b128 v[32:35], v226 offset:32                      // 000000002B00: D9FE0020 200000E2
	ds_read_b128 v[36:39], v226 offset:4160                    // 000000002B08: D9FE1040 240000E2
	ds_read_b128 v[40:43], v226 offset:4192                    // 000000002B10: D9FE1060 280000E2
	ds_read_b128 v[44:47], v226 offset:8320                    // 000000002B18: D9FE2080 2C0000E2
	ds_read_b128 v[48:51], v226 offset:8352                    // 000000002B20: D9FE20A0 300000E2

0000000000002b28 <label_01CA>:
	s_cmp_lt_i32 s72, s73                                      // 000000002B28: BF044948
	s_cbranch_scc0 label_0C00                                  // 000000002B2C: BF840A34
	s_waitcnt lgkmcnt(4)                                       // 000000002B30: BF8CC47F
	v_mfma_f32_32x32x64_f8f6f4 v[60:75], v[28:35], v[4:11], 0  // 000000002B34: D3AE003C 0202091C
	v_mul_i32_i24_dpp v192, v188, v234 quad_perm:[2,2,2,2] row_mask:0xf bank_mask:0xf// 000000002B3C: 0D81D4FA FF00AABC
	v_mul_i32_i24_dpp v193, v188, v234 quad_perm:[3,3,3,3] row_mask:0xf bank_mask:0xf// 000000002B44: 0D83D4FA FF00FFBC
	v_add_u32_e32 v219, v218, v192                             // 000000002B4C: 69B781DA
	v_add_u32_e32 v220, v218, v193                             // 000000002B50: 69B983DA
	ds_read_b128 v[52:55], v226 offset:512                     // 000000002B54: D9FE0200 340000E2
	ds_read_b128 v[56:59], v226 offset:544                     // 000000002B5C: D9FE0220 380000E2
	s_waitcnt lgkmcnt(4)                                       // 000000002B64: BF8CC47F
	v_mfma_f32_32x32x64_f8f6f4 v[60:75], v[36:43], v[12:19], v[60:75]// 000000002B68: D3AE003C 04F21924
	s_add_u32 m0, s93, 0x6180                                  // 000000002B70: 807CFF5D 00006180
	buffer_load_dwordx4 v219, s[8:11], 0 offen lds             // 000000002B78: E05D1000 800200DB
	ds_read_b128 v[28:31], v226 offset:4672                    // 000000002B80: D9FE1240 1C0000E2
	ds_read_b128 v[32:35], v226 offset:4704                    // 000000002B88: D9FE1260 200000E2
	s_waitcnt lgkmcnt(4)                                       // 000000002B90: BF8CC47F
	v_mfma_f32_32x32x64_f8f6f4 v[60:75], v[44:51], v[20:27], v[60:75]// 000000002B94: D3AE003C 04F2292C
	s_add_u32 m0, s93, 0x6590                                  // 000000002B9C: 807CFF5D 00006590
	buffer_load_dwordx4 v220, s[8:11], 0 offen lds             // 000000002BA4: E05D1000 800200DC
	ds_read_b128 v[36:39], v226 offset:8832                    // 000000002BAC: D9FE2280 240000E2
	ds_read_b128 v[40:43], v226 offset:8864                    // 000000002BB4: D9FE22A0 280000E2
	s_waitcnt lgkmcnt(4)                                       // 000000002BBC: BF8CC47F
	v_mfma_f32_32x32x64_f8f6f4 v[76:91], v[52:59], v[4:11], 0  // 000000002BC0: D3AE004C 02020934
	s_add_u32 m0, s93, 0x7180                                  // 000000002BC8: 807CFF5D 00007180
	buffer_load_dwordx4 v219, s[8:11], 0 offen offset:64 lds   // 000000002BD0: E05D1040 800200DB
	ds_read_b128 v[44:47], v226 offset:12480                   // 000000002BD8: D9FE30C0 2C0000E2
	ds_read_b128 v[48:51], v226 offset:12512                   // 000000002BE0: D9FE30E0 300000E2
	s_waitcnt lgkmcnt(4)                                       // 000000002BE8: BF8CC47F
	v_mfma_f32_32x32x64_f8f6f4 v[76:91], v[28:35], v[12:19], v[76:91]// 000000002BEC: D3AE004C 0532191C
	s_add_u32 m0, s93, 0x7590                                  // 000000002BF4: 807CFF5D 00007590
	buffer_load_dwordx4 v220, s[8:11], 0 offen offset:64 lds   // 000000002BFC: E05D1040 800200DC
	ds_read_b128 v[52:55], v226 offset:16640                   // 000000002C04: D9FE4100 340000E2
	ds_read_b128 v[56:59], v226 offset:16672                   // 000000002C0C: D9FE4120 380000E2
	s_waitcnt lgkmcnt(4)                                       // 000000002C14: BF8CC47F
	v_mfma_f32_32x32x64_f8f6f4 v[76:91], v[36:43], v[20:27], v[76:91]// 000000002C18: D3AE004C 05322924
	s_add_u32 m0, s93, 0x8180                                  // 000000002C20: 807CFF5D 00008180
	buffer_load_dwordx4 v219, s[8:11], 0 offen offset:128 lds  // 000000002C28: E05D1080 800200DB
	ds_read_b128 v[28:31], v226 offset:20800                   // 000000002C30: D9FE5140 1C0000E2
	ds_read_b128 v[32:35], v226 offset:20832                   // 000000002C38: D9FE5160 200000E2
	s_waitcnt lgkmcnt(4)                                       // 000000002C40: BF8CC47F
	v_mfma_f32_32x32x64_f8f6f4 v[92:107], v[44:51], v[4:11], 0 // 000000002C44: D3AE005C 0202092C
	s_add_u32 m0, s93, 0x8590                                  // 000000002C4C: 807CFF5D 00008590
	buffer_load_dwordx4 v220, s[8:11], 0 offen offset:128 lds  // 000000002C54: E05D1080 800200DC
	ds_read_b128 v[36:39], v226 offset:12992                   // 000000002C5C: D9FE32C0 240000E2
	ds_read_b128 v[40:43], v226 offset:13024                   // 000000002C64: D9FE32E0 280000E2
	s_waitcnt lgkmcnt(4)                                       // 000000002C6C: BF8CC47F
	v_mfma_f32_32x32x64_f8f6f4 v[92:107], v[52:59], v[12:19], v[92:107]// 000000002C70: D3AE005C 05721934
	buffer_load_dword v188, v215, s[44:47], 0 offen            // 000000002C78: E0501000 800BBCD7
	v_add_u32_e32 v215, 0x400, v215                            // 000000002C80: 69AFAEFF 00000400
	ds_read_b128 v[44:47], v226 offset:17152                   // 000000002C88: D9FE4300 2C0000E2
	ds_read_b128 v[48:51], v226 offset:17184                   // 000000002C90: D9FE4320 300000E2
	s_waitcnt lgkmcnt(4)                                       // 000000002C98: BF8CC47F
	v_mfma_f32_32x32x64_f8f6f4 v[92:107], v[28:35], v[20:27], v[92:107]// 000000002C9C: D3AE005C 0572291C
	ds_read_b128 v[52:55], v226 offset:21312                   // 000000002CA4: D9FE5340 340000E2
	ds_read_b128 v[56:59], v226 offset:21344                   // 000000002CAC: D9FE5360 380000E2
	s_waitcnt lgkmcnt(4)                                       // 000000002CB4: BF8CC47F
	v_mfma_f32_32x32x64_f8f6f4 v[108:123], v[36:43], v[4:11], 0// 000000002CB8: D3AE006C 02020924
	s_barrier                                                  // 000000002CC0: BF8A0000
	ds_read_b64_tr_b8 v[28:29], v227                           // 000000002CC4: D9C40000 1C0000E3
	ds_read_b64_tr_b8 v[30:31], v227 offset:256                // 000000002CCC: D9C40100 1E0000E3
	ds_read_b64_tr_b8 v[32:33], v227 offset:512                // 000000002CD4: D9C40200 200000E3
	ds_read_b64_tr_b8 v[34:35], v227 offset:768                // 000000002CDC: D9C40300 220000E3
	s_waitcnt lgkmcnt(6)                                       // 000000002CE4: BF8CC67F
	v_mfma_f32_32x32x64_f8f6f4 v[108:123], v[44:51], v[12:19], v[108:123]// 000000002CE8: D3AE006C 05B2192C
	ds_read_b64_tr_b8 v[36:37], v227 offset:8320               // 000000002CF0: D9C42080 240000E3
	ds_read_b64_tr_b8 v[38:39], v227 offset:8576               // 000000002CF8: D9C42180 260000E3
	ds_read_b64_tr_b8 v[40:41], v227 offset:8832               // 000000002D00: D9C42280 280000E3
	ds_read_b64_tr_b8 v[42:43], v227 offset:9088               // 000000002D08: D9C42380 2A0000E3
	s_waitcnt lgkmcnt(8)                                       // 000000002D10: BF8CC87F
	v_mfma_f32_32x32x64_f8f6f4 v[108:123], v[52:59], v[20:27], v[108:123]// 000000002D14: D3AE006C 05B22934
	ds_read_b64_tr_b8 v[44:45], v227 offset:32                 // 000000002D1C: D9C40020 2C0000E3
	ds_read_b64_tr_b8 v[46:47], v227 offset:288                // 000000002D24: D9C40120 2E0000E3
	ds_read_b64_tr_b8 v[48:49], v227 offset:544                // 000000002D2C: D9C40220 300000E3
	ds_read_b64_tr_b8 v[50:51], v227 offset:800                // 000000002D34: D9C40320 320000E3
	s_nop 5                                                    // 000000002D3C: BF800005
	s_barrier                                                  // 000000002D40: BF8A0000
	s_setprio 0                                                // 000000002D44: BF8F0000
	s_barrier                                                  // 000000002D48: BF8A0000
	v_mov_b32_e32 v201, v200                                   // 000000002D4C: 7F9203C8
	v_max3_f32 v201, v60, v61, v201                            // 000000002D50: D1D300C9 07267B3C
	v_max3_f32 v201, v62, v63, v201                            // 000000002D58: D1D300C9 07267F3E
	v_max3_f32 v201, v64, v65, v201                            // 000000002D60: D1D300C9 07268340
	v_max3_f32 v201, v66, v67, v201                            // 000000002D68: D1D300C9 07268742
	v_max3_f32 v201, v68, v69, v201                            // 000000002D70: D1D300C9 07268B44
	v_max3_f32 v201, v70, v71, v201                            // 000000002D78: D1D300C9 07268F46
	v_max3_f32 v201, v72, v73, v201                            // 000000002D80: D1D300C9 07269348
	v_max3_f32 v201, v74, v75, v201                            // 000000002D88: D1D300C9 0726974A
	v_max3_f32 v201, v76, v77, v201                            // 000000002D90: D1D300C9 07269B4C
	v_max3_f32 v201, v78, v79, v201                            // 000000002D98: D1D300C9 07269F4E
	v_max3_f32 v201, v80, v81, v201                            // 000000002DA0: D1D300C9 0726A350
	v_max3_f32 v201, v82, v83, v201                            // 000000002DA8: D1D300C9 0726A752
	v_max3_f32 v201, v84, v85, v201                            // 000000002DB0: D1D300C9 0726AB54
	v_max3_f32 v201, v86, v87, v201                            // 000000002DB8: D1D300C9 0726AF56
	v_max3_f32 v201, v88, v89, v201                            // 000000002DC0: D1D300C9 0726B358
	v_max3_f32 v201, v90, v91, v201                            // 000000002DC8: D1D300C9 0726B75A
	v_max3_f32 v201, v92, v93, v201                            // 000000002DD0: D1D300C9 0726BB5C
	v_max3_f32 v201, v94, v95, v201                            // 000000002DD8: D1D300C9 0726BF5E
	v_max3_f32 v201, v96, v97, v201                            // 000000002DE0: D1D300C9 0726C360
	v_max3_f32 v201, v98, v99, v201                            // 000000002DE8: D1D300C9 0726C762
	v_max3_f32 v201, v100, v101, v201                          // 000000002DF0: D1D300C9 0726CB64
	v_max3_f32 v201, v102, v103, v201                          // 000000002DF8: D1D300C9 0726CF66
	v_max3_f32 v201, v104, v105, v201                          // 000000002E00: D1D300C9 0726D368
	v_max3_f32 v201, v106, v107, v201                          // 000000002E08: D1D300C9 0726D76A
	v_max3_f32 v201, v108, v109, v201                          // 000000002E10: D1D300C9 0726DB6C
	v_max3_f32 v201, v110, v111, v201                          // 000000002E18: D1D300C9 0726DF6E
	v_max3_f32 v201, v112, v113, v201                          // 000000002E20: D1D300C9 0726E370
	v_max3_f32 v201, v114, v115, v201                          // 000000002E28: D1D300C9 0726E772
	v_max3_f32 v201, v116, v117, v201                          // 000000002E30: D1D300C9 0726EB74
	v_max3_f32 v201, v118, v119, v201                          // 000000002E38: D1D300C9 0726EF76
	v_max3_f32 v201, v120, v121, v201                          // 000000002E40: D1D300C9 0726F378
	v_max3_f32 v201, v122, v123, v201                          // 000000002E48: D1D300C9 0726F77A
	v_mov_b32_e32 v192, v201                                   // 000000002E50: 7F8003C9
	s_nop 1                                                    // 000000002E54: BF800001
	s_nop 0                                                    // 000000002E58: BF800000
	v_permlane32_swap_b32_e32 v192, v201                       // 000000002E5C: 7F80B5C9
	v_max_f32_e32 v201, v201, v192                             // 000000002E60: 179381C9
	v_mul_f32_e64 v192, -s54, v201                             // 000000002E64: D10500C0 20039236
	v_mov_b32_e32 v193, v192                                   // 000000002E6C: 7F8203C0
	v_pk_fma_f32 v[60:61], v[60:61], s[54:55], v[192:193]      // 000000002E70: D3B0403C 1F006D3C
	v_pk_fma_f32 v[62:63], v[62:63], s[54:55], v[192:193]      // 000000002E78: D3B0403E 1F006D3E
	v_pk_fma_f32 v[64:65], v[64:65], s[54:55], v[192:193]      // 000000002E80: D3B04040 1F006D40
	v_pk_fma_f32 v[66:67], v[66:67], s[54:55], v[192:193]      // 000000002E88: D3B04042 1F006D42
	v_pk_fma_f32 v[68:69], v[68:69], s[54:55], v[192:193]      // 000000002E90: D3B04044 1F006D44
	v_pk_fma_f32 v[70:71], v[70:71], s[54:55], v[192:193]      // 000000002E98: D3B04046 1F006D46
	v_pk_fma_f32 v[72:73], v[72:73], s[54:55], v[192:193]      // 000000002EA0: D3B04048 1F006D48
	v_pk_fma_f32 v[74:75], v[74:75], s[54:55], v[192:193]      // 000000002EA8: D3B0404A 1F006D4A
	v_pk_fma_f32 v[76:77], v[76:77], s[54:55], v[192:193]      // 000000002EB0: D3B0404C 1F006D4C
	v_pk_fma_f32 v[78:79], v[78:79], s[54:55], v[192:193]      // 000000002EB8: D3B0404E 1F006D4E
	v_pk_fma_f32 v[80:81], v[80:81], s[54:55], v[192:193]      // 000000002EC0: D3B04050 1F006D50
	v_pk_fma_f32 v[82:83], v[82:83], s[54:55], v[192:193]      // 000000002EC8: D3B04052 1F006D52
	v_pk_fma_f32 v[84:85], v[84:85], s[54:55], v[192:193]      // 000000002ED0: D3B04054 1F006D54
	v_pk_fma_f32 v[86:87], v[86:87], s[54:55], v[192:193]      // 000000002ED8: D3B04056 1F006D56
	v_pk_fma_f32 v[88:89], v[88:89], s[54:55], v[192:193]      // 000000002EE0: D3B04058 1F006D58
	v_pk_fma_f32 v[90:91], v[90:91], s[54:55], v[192:193]      // 000000002EE8: D3B0405A 1F006D5A
	v_pk_fma_f32 v[92:93], v[92:93], s[54:55], v[192:193]      // 000000002EF0: D3B0405C 1F006D5C
	v_pk_fma_f32 v[94:95], v[94:95], s[54:55], v[192:193]      // 000000002EF8: D3B0405E 1F006D5E
	v_pk_fma_f32 v[96:97], v[96:97], s[54:55], v[192:193]      // 000000002F00: D3B04060 1F006D60
	v_pk_fma_f32 v[98:99], v[98:99], s[54:55], v[192:193]      // 000000002F08: D3B04062 1F006D62
	v_pk_fma_f32 v[100:101], v[100:101], s[54:55], v[192:193]  // 000000002F10: D3B04064 1F006D64
	v_pk_fma_f32 v[102:103], v[102:103], s[54:55], v[192:193]  // 000000002F18: D3B04066 1F006D66
	v_pk_fma_f32 v[104:105], v[104:105], s[54:55], v[192:193]  // 000000002F20: D3B04068 1F006D68
	v_pk_fma_f32 v[106:107], v[106:107], s[54:55], v[192:193]  // 000000002F28: D3B0406A 1F006D6A
	v_pk_fma_f32 v[108:109], v[108:109], s[54:55], v[192:193]  // 000000002F30: D3B0406C 1F006D6C
	v_pk_fma_f32 v[110:111], v[110:111], s[54:55], v[192:193]  // 000000002F38: D3B0406E 1F006D6E
	v_pk_fma_f32 v[112:113], v[112:113], s[54:55], v[192:193]  // 000000002F40: D3B04070 1F006D70
	v_pk_fma_f32 v[114:115], v[114:115], s[54:55], v[192:193]  // 000000002F48: D3B04072 1F006D72
	v_pk_fma_f32 v[116:117], v[116:117], s[54:55], v[192:193]  // 000000002F50: D3B04074 1F006D74
	v_pk_fma_f32 v[118:119], v[118:119], s[54:55], v[192:193]  // 000000002F58: D3B04076 1F006D76
	v_pk_fma_f32 v[120:121], v[120:121], s[54:55], v[192:193]  // 000000002F60: D3B04078 1F006D78
	v_pk_fma_f32 v[122:123], v[122:123], s[54:55], v[192:193]  // 000000002F68: D3B0407A 1F006D7A
	s_barrier                                                  // 000000002F70: BF8A0000
	v_exp_f32_e32 v60, v60                                     // 000000002F74: 7E78413C
	v_exp_f32_e32 v61, v61                                     // 000000002F78: 7E7A413D
	v_exp_f32_e32 v62, v62                                     // 000000002F7C: 7E7C413E
	v_exp_f32_e32 v63, v63                                     // 000000002F80: 7E7E413F
	v_exp_f32_e32 v64, v64                                     // 000000002F84: 7E804140
	v_exp_f32_e32 v65, v65                                     // 000000002F88: 7E824141
	v_exp_f32_e32 v66, v66                                     // 000000002F8C: 7E844142
	v_exp_f32_e32 v67, v67                                     // 000000002F90: 7E864143
	v_exp_f32_e32 v68, v68                                     // 000000002F94: 7E884144
	v_exp_f32_e32 v69, v69                                     // 000000002F98: 7E8A4145
	v_exp_f32_e32 v70, v70                                     // 000000002F9C: 7E8C4146
	v_exp_f32_e32 v71, v71                                     // 000000002FA0: 7E8E4147
	v_exp_f32_e32 v72, v72                                     // 000000002FA4: 7E904148
	v_exp_f32_e32 v73, v73                                     // 000000002FA8: 7E924149
	v_exp_f32_e32 v74, v74                                     // 000000002FAC: 7E94414A
	v_exp_f32_e32 v75, v75                                     // 000000002FB0: 7E96414B
	v_exp_f32_e32 v76, v76                                     // 000000002FB4: 7E98414C
	v_exp_f32_e32 v77, v77                                     // 000000002FB8: 7E9A414D
	v_exp_f32_e32 v78, v78                                     // 000000002FBC: 7E9C414E
	v_exp_f32_e32 v79, v79                                     // 000000002FC0: 7E9E414F
	v_exp_f32_e32 v80, v80                                     // 000000002FC4: 7EA04150
	v_exp_f32_e32 v81, v81                                     // 000000002FC8: 7EA24151
	v_exp_f32_e32 v82, v82                                     // 000000002FCC: 7EA44152
	v_exp_f32_e32 v83, v83                                     // 000000002FD0: 7EA64153
	v_exp_f32_e32 v84, v84                                     // 000000002FD4: 7EA84154
	v_exp_f32_e32 v85, v85                                     // 000000002FD8: 7EAA4155
	v_exp_f32_e32 v86, v86                                     // 000000002FDC: 7EAC4156
	v_exp_f32_e32 v87, v87                                     // 000000002FE0: 7EAE4157
	v_exp_f32_e32 v88, v88                                     // 000000002FE4: 7EB04158
	v_exp_f32_e32 v89, v89                                     // 000000002FE8: 7EB24159
	v_exp_f32_e32 v90, v90                                     // 000000002FEC: 7EB4415A
	v_exp_f32_e32 v91, v91                                     // 000000002FF0: 7EB6415B
	v_exp_f32_e32 v92, v92                                     // 000000002FF4: 7EB8415C
	v_exp_f32_e32 v93, v93                                     // 000000002FF8: 7EBA415D
	v_exp_f32_e32 v94, v94                                     // 000000002FFC: 7EBC415E
	v_exp_f32_e32 v95, v95                                     // 000000003000: 7EBE415F
	v_exp_f32_e32 v96, v96                                     // 000000003004: 7EC04160
	v_exp_f32_e32 v97, v97                                     // 000000003008: 7EC24161
	v_exp_f32_e32 v98, v98                                     // 00000000300C: 7EC44162
	v_exp_f32_e32 v99, v99                                     // 000000003010: 7EC64163
	v_exp_f32_e32 v100, v100                                   // 000000003014: 7EC84164
	v_exp_f32_e32 v101, v101                                   // 000000003018: 7ECA4165
	v_exp_f32_e32 v102, v102                                   // 00000000301C: 7ECC4166
	v_exp_f32_e32 v103, v103                                   // 000000003020: 7ECE4167
	v_exp_f32_e32 v104, v104                                   // 000000003024: 7ED04168
	v_exp_f32_e32 v105, v105                                   // 000000003028: 7ED24169
	v_exp_f32_e32 v106, v106                                   // 00000000302C: 7ED4416A
	v_exp_f32_e32 v107, v107                                   // 000000003030: 7ED6416B
	v_exp_f32_e32 v108, v108                                   // 000000003034: 7ED8416C
	v_exp_f32_e32 v109, v109                                   // 000000003038: 7EDA416D
	v_exp_f32_e32 v110, v110                                   // 00000000303C: 7EDC416E
	v_exp_f32_e32 v111, v111                                   // 000000003040: 7EDE416F
	v_exp_f32_e32 v112, v112                                   // 000000003044: 7EE04170
	v_exp_f32_e32 v113, v113                                   // 000000003048: 7EE24171
	v_exp_f32_e32 v114, v114                                   // 00000000304C: 7EE44172
	v_exp_f32_e32 v115, v115                                   // 000000003050: 7EE64173
	v_exp_f32_e32 v116, v116                                   // 000000003054: 7EE84174
	v_exp_f32_e32 v117, v117                                   // 000000003058: 7EEA4175
	v_exp_f32_e32 v118, v118                                   // 00000000305C: 7EEC4176
	v_exp_f32_e32 v119, v119                                   // 000000003060: 7EEE4177
	v_exp_f32_e32 v120, v120                                   // 000000003064: 7EF04178
	v_exp_f32_e32 v121, v121                                   // 000000003068: 7EF24179
	v_exp_f32_e32 v122, v122                                   // 00000000306C: 7EF4417A
	v_exp_f32_e32 v123, v123                                   // 000000003070: 7EF6417B
	v_sub_f32_e32 v196, v200, v201                             // 000000003074: 058993C8
	v_cmp_eq_u32_e64 s[64:65], v205, v200                      // 000000003078: D0CA0040 000391CD
	s_nop 0                                                    // 000000003080: BF800000
	v_cndmask_b32_e64 v196, v196, 0, s[64:65]                  // 000000003084: D10000C4 010101C4
	v_mov_b32_e32 v200, v201                                   // 00000000308C: 7F9003C9
	v_mul_f32_e32 v196, s54, v196                              // 000000003090: 0B898836
	v_exp_f32_e32 v196, v196                                   // 000000003094: 7F8841C4
	s_nop 0                                                    // 000000003098: BF800000
	v_mul_f32_e32 v198, v196, v198                             // 00000000309C: 0B8D8DC4
	v_add_f32_e32 v198, v60, v198                              // 0000000030A0: 038D8D3C
	v_add_f32_e32 v198, v61, v198                              // 0000000030A4: 038D8D3D
	v_add_f32_e32 v198, v62, v198                              // 0000000030A8: 038D8D3E
	v_add_f32_e32 v198, v63, v198                              // 0000000030AC: 038D8D3F
	v_add_f32_e32 v198, v64, v198                              // 0000000030B0: 038D8D40
	v_add_f32_e32 v198, v65, v198                              // 0000000030B4: 038D8D41
	v_add_f32_e32 v198, v66, v198                              // 0000000030B8: 038D8D42
	v_add_f32_e32 v198, v67, v198                              // 0000000030BC: 038D8D43
	v_add_f32_e32 v198, v68, v198                              // 0000000030C0: 038D8D44
	v_add_f32_e32 v198, v69, v198                              // 0000000030C4: 038D8D45
	v_add_f32_e32 v198, v70, v198                              // 0000000030C8: 038D8D46
	v_add_f32_e32 v198, v71, v198                              // 0000000030CC: 038D8D47
	v_add_f32_e32 v198, v72, v198                              // 0000000030D0: 038D8D48
	v_add_f32_e32 v198, v73, v198                              // 0000000030D4: 038D8D49
	v_add_f32_e32 v198, v74, v198                              // 0000000030D8: 038D8D4A
	v_add_f32_e32 v198, v75, v198                              // 0000000030DC: 038D8D4B
	v_add_f32_e32 v198, v76, v198                              // 0000000030E0: 038D8D4C
	v_add_f32_e32 v198, v77, v198                              // 0000000030E4: 038D8D4D
	v_add_f32_e32 v198, v78, v198                              // 0000000030E8: 038D8D4E
	v_add_f32_e32 v198, v79, v198                              // 0000000030EC: 038D8D4F
	v_add_f32_e32 v198, v80, v198                              // 0000000030F0: 038D8D50
	v_add_f32_e32 v198, v81, v198                              // 0000000030F4: 038D8D51
	v_add_f32_e32 v198, v82, v198                              // 0000000030F8: 038D8D52
	v_add_f32_e32 v198, v83, v198                              // 0000000030FC: 038D8D53
	v_add_f32_e32 v198, v84, v198                              // 000000003100: 038D8D54
	v_add_f32_e32 v198, v85, v198                              // 000000003104: 038D8D55
	v_add_f32_e32 v198, v86, v198                              // 000000003108: 038D8D56
	v_add_f32_e32 v198, v87, v198                              // 00000000310C: 038D8D57
	v_add_f32_e32 v198, v88, v198                              // 000000003110: 038D8D58
	v_add_f32_e32 v198, v89, v198                              // 000000003114: 038D8D59
	v_add_f32_e32 v198, v90, v198                              // 000000003118: 038D8D5A
	v_add_f32_e32 v198, v91, v198                              // 00000000311C: 038D8D5B
	v_add_f32_e32 v198, v92, v198                              // 000000003120: 038D8D5C
	v_add_f32_e32 v198, v93, v198                              // 000000003124: 038D8D5D
	v_add_f32_e32 v198, v94, v198                              // 000000003128: 038D8D5E
	v_add_f32_e32 v198, v95, v198                              // 00000000312C: 038D8D5F
	v_add_f32_e32 v198, v96, v198                              // 000000003130: 038D8D60
	v_add_f32_e32 v198, v97, v198                              // 000000003134: 038D8D61
	v_add_f32_e32 v198, v98, v198                              // 000000003138: 038D8D62
	v_add_f32_e32 v198, v99, v198                              // 00000000313C: 038D8D63
	v_add_f32_e32 v198, v100, v198                             // 000000003140: 038D8D64
	v_add_f32_e32 v198, v101, v198                             // 000000003144: 038D8D65
	v_add_f32_e32 v198, v102, v198                             // 000000003148: 038D8D66
	v_add_f32_e32 v198, v103, v198                             // 00000000314C: 038D8D67
	v_add_f32_e32 v198, v104, v198                             // 000000003150: 038D8D68
	v_add_f32_e32 v198, v105, v198                             // 000000003154: 038D8D69
	v_add_f32_e32 v198, v106, v198                             // 000000003158: 038D8D6A
	v_add_f32_e32 v198, v107, v198                             // 00000000315C: 038D8D6B
	v_add_f32_e32 v198, v108, v198                             // 000000003160: 038D8D6C
	v_add_f32_e32 v198, v109, v198                             // 000000003164: 038D8D6D
	v_add_f32_e32 v198, v110, v198                             // 000000003168: 038D8D6E
	v_add_f32_e32 v198, v111, v198                             // 00000000316C: 038D8D6F
	v_add_f32_e32 v198, v112, v198                             // 000000003170: 038D8D70
	v_add_f32_e32 v198, v113, v198                             // 000000003174: 038D8D71
	v_add_f32_e32 v198, v114, v198                             // 000000003178: 038D8D72
	v_add_f32_e32 v198, v115, v198                             // 00000000317C: 038D8D73
	v_add_f32_e32 v198, v116, v198                             // 000000003180: 038D8D74
	v_add_f32_e32 v198, v117, v198                             // 000000003184: 038D8D75
	v_add_f32_e32 v198, v118, v198                             // 000000003188: 038D8D76
	v_add_f32_e32 v198, v119, v198                             // 00000000318C: 038D8D77
	v_add_f32_e32 v198, v120, v198                             // 000000003190: 038D8D78
	v_add_f32_e32 v198, v121, v198                             // 000000003194: 038D8D79
	v_add_f32_e32 v198, v122, v198                             // 000000003198: 038D8D7A
	v_add_f32_e32 v198, v123, v198                             // 00000000319C: 038D8D7B
	v_mul_f32_e32 v124, v196, v124                             // 0000000031A0: 0AF8F9C4
	v_mul_f32_e32 v125, v196, v125                             // 0000000031A4: 0AFAFBC4
	v_mul_f32_e32 v126, v196, v126                             // 0000000031A8: 0AFCFDC4
	v_mul_f32_e32 v127, v196, v127                             // 0000000031AC: 0AFEFFC4
	v_mul_f32_e32 v128, v196, v128                             // 0000000031B0: 0B0101C4
	v_mul_f32_e32 v129, v196, v129                             // 0000000031B4: 0B0303C4
	v_mul_f32_e32 v130, v196, v130                             // 0000000031B8: 0B0505C4
	v_mul_f32_e32 v131, v196, v131                             // 0000000031BC: 0B0707C4
	v_mul_f32_e32 v132, v196, v132                             // 0000000031C0: 0B0909C4
	v_mul_f32_e32 v133, v196, v133                             // 0000000031C4: 0B0B0BC4
	v_mul_f32_e32 v134, v196, v134                             // 0000000031C8: 0B0D0DC4
	v_mul_f32_e32 v135, v196, v135                             // 0000000031CC: 0B0F0FC4
	v_mul_f32_e32 v136, v196, v136                             // 0000000031D0: 0B1111C4
	v_mul_f32_e32 v137, v196, v137                             // 0000000031D4: 0B1313C4
	v_mul_f32_e32 v138, v196, v138                             // 0000000031D8: 0B1515C4
	v_mul_f32_e32 v139, v196, v139                             // 0000000031DC: 0B1717C4
	v_mul_f32_e32 v140, v196, v140                             // 0000000031E0: 0B1919C4
	v_mul_f32_e32 v141, v196, v141                             // 0000000031E4: 0B1B1BC4
	v_mul_f32_e32 v142, v196, v142                             // 0000000031E8: 0B1D1DC4
	v_mul_f32_e32 v143, v196, v143                             // 0000000031EC: 0B1F1FC4
	v_mul_f32_e32 v144, v196, v144                             // 0000000031F0: 0B2121C4
	v_mul_f32_e32 v145, v196, v145                             // 0000000031F4: 0B2323C4
	v_mul_f32_e32 v146, v196, v146                             // 0000000031F8: 0B2525C4
	v_mul_f32_e32 v147, v196, v147                             // 0000000031FC: 0B2727C4
	v_mul_f32_e32 v148, v196, v148                             // 000000003200: 0B2929C4
	v_mul_f32_e32 v149, v196, v149                             // 000000003204: 0B2B2BC4
	v_mul_f32_e32 v150, v196, v150                             // 000000003208: 0B2D2DC4
	v_mul_f32_e32 v151, v196, v151                             // 00000000320C: 0B2F2FC4
	v_mul_f32_e32 v152, v196, v152                             // 000000003210: 0B3131C4
	v_mul_f32_e32 v153, v196, v153                             // 000000003214: 0B3333C4
	v_mul_f32_e32 v154, v196, v154                             // 000000003218: 0B3535C4
	v_mul_f32_e32 v155, v196, v155                             // 00000000321C: 0B3737C4
	v_mul_f32_e32 v156, v196, v156                             // 000000003220: 0B3939C4
	v_mul_f32_e32 v157, v196, v157                             // 000000003224: 0B3B3BC4
	v_mul_f32_e32 v158, v196, v158                             // 000000003228: 0B3D3DC4
	v_mul_f32_e32 v159, v196, v159                             // 00000000322C: 0B3F3FC4
	v_mul_f32_e32 v160, v196, v160                             // 000000003230: 0B4141C4
	v_mul_f32_e32 v161, v196, v161                             // 000000003234: 0B4343C4
	v_mul_f32_e32 v162, v196, v162                             // 000000003238: 0B4545C4
	v_mul_f32_e32 v163, v196, v163                             // 00000000323C: 0B4747C4
	v_mul_f32_e32 v164, v196, v164                             // 000000003240: 0B4949C4
	v_mul_f32_e32 v165, v196, v165                             // 000000003244: 0B4B4BC4
	v_mul_f32_e32 v166, v196, v166                             // 000000003248: 0B4D4DC4
	v_mul_f32_e32 v167, v196, v167                             // 00000000324C: 0B4F4FC4
	v_mul_f32_e32 v168, v196, v168                             // 000000003250: 0B5151C4
	v_mul_f32_e32 v169, v196, v169                             // 000000003254: 0B5353C4
	v_mul_f32_e32 v170, v196, v170                             // 000000003258: 0B5555C4
	v_mul_f32_e32 v171, v196, v171                             // 00000000325C: 0B5757C4
	v_mul_f32_e32 v172, v196, v172                             // 000000003260: 0B5959C4
	v_mul_f32_e32 v173, v196, v173                             // 000000003264: 0B5B5BC4
	v_mul_f32_e32 v174, v196, v174                             // 000000003268: 0B5D5DC4
	v_mul_f32_e32 v175, v196, v175                             // 00000000326C: 0B5F5FC4
	v_mul_f32_e32 v176, v196, v176                             // 000000003270: 0B6161C4
	v_mul_f32_e32 v177, v196, v177                             // 000000003274: 0B6363C4
	v_mul_f32_e32 v178, v196, v178                             // 000000003278: 0B6565C4
	v_mul_f32_e32 v179, v196, v179                             // 00000000327C: 0B6767C4
	v_mul_f32_e32 v180, v196, v180                             // 000000003280: 0B6969C4
	v_mul_f32_e32 v181, v196, v181                             // 000000003284: 0B6B6BC4
	v_mul_f32_e32 v182, v196, v182                             // 000000003288: 0B6D6DC4
	v_mul_f32_e32 v183, v196, v183                             // 00000000328C: 0B6F6FC4
	v_mul_f32_e32 v184, v196, v184                             // 000000003290: 0B7171C4
	v_mul_f32_e32 v185, v196, v185                             // 000000003294: 0B7373C4
	v_mul_f32_e32 v186, v196, v186                             // 000000003298: 0B7575C4
	v_mul_f32_e32 v187, v196, v187                             // 00000000329C: 0B7777C4
	v_mov_b32_e32 v197, v196                                   // 0000000032A0: 7F8A03C4
	s_barrier                                                  // 0000000032A4: BF8A0000
	v_cvt_pk_fp8_f32 v60, v60, v61                             // 0000000032A8: D2A2003C 00027B3C
	v_cvt_pk_fp8_f32 v60, v62, v63 op_sel:[0,0,1]              // 0000000032B0: D2A2403C 00027F3E
	v_cvt_pk_fp8_f32 v61, v64, v65                             // 0000000032B8: D2A2003D 00028340
	v_cvt_pk_fp8_f32 v61, v66, v67 op_sel:[0,0,1]              // 0000000032C0: D2A2403D 00028742
	v_cvt_pk_fp8_f32 v62, v68, v69                             // 0000000032C8: D2A2003E 00028B44
	v_cvt_pk_fp8_f32 v62, v70, v71 op_sel:[0,0,1]              // 0000000032D0: D2A2403E 00028F46
	v_cvt_pk_fp8_f32 v63, v72, v73                             // 0000000032D8: D2A2003F 00029348
	v_cvt_pk_fp8_f32 v63, v74, v75 op_sel:[0,0,1]              // 0000000032E0: D2A2403F 0002974A
	v_cvt_pk_fp8_f32 v64, v76, v77                             // 0000000032E8: D2A20040 00029B4C
	v_cvt_pk_fp8_f32 v64, v78, v79 op_sel:[0,0,1]              // 0000000032F0: D2A24040 00029F4E
	v_cvt_pk_fp8_f32 v65, v80, v81                             // 0000000032F8: D2A20041 0002A350
	v_cvt_pk_fp8_f32 v65, v82, v83 op_sel:[0,0,1]              // 000000003300: D2A24041 0002A752
	v_cvt_pk_fp8_f32 v66, v84, v85                             // 000000003308: D2A20042 0002AB54
	v_cvt_pk_fp8_f32 v66, v86, v87 op_sel:[0,0,1]              // 000000003310: D2A24042 0002AF56
	v_cvt_pk_fp8_f32 v67, v88, v89                             // 000000003318: D2A20043 0002B358
	v_cvt_pk_fp8_f32 v67, v90, v91 op_sel:[0,0,1]              // 000000003320: D2A24043 0002B75A
	v_cvt_pk_fp8_f32 v68, v92, v93                             // 000000003328: D2A20044 0002BB5C
	v_cvt_pk_fp8_f32 v68, v94, v95 op_sel:[0,0,1]              // 000000003330: D2A24044 0002BF5E
	v_cvt_pk_fp8_f32 v69, v96, v97                             // 000000003338: D2A20045 0002C360
	v_cvt_pk_fp8_f32 v69, v98, v99 op_sel:[0,0,1]              // 000000003340: D2A24045 0002C762
	v_cvt_pk_fp8_f32 v70, v100, v101                           // 000000003348: D2A20046 0002CB64
	v_cvt_pk_fp8_f32 v70, v102, v103 op_sel:[0,0,1]            // 000000003350: D2A24046 0002CF66
	v_cvt_pk_fp8_f32 v71, v104, v105                           // 000000003358: D2A20047 0002D368
	v_cvt_pk_fp8_f32 v71, v106, v107 op_sel:[0,0,1]            // 000000003360: D2A24047 0002D76A
	v_cvt_pk_fp8_f32 v72, v108, v109                           // 000000003368: D2A20048 0002DB6C
	v_cvt_pk_fp8_f32 v72, v110, v111 op_sel:[0,0,1]            // 000000003370: D2A24048 0002DF6E
	v_cvt_pk_fp8_f32 v73, v112, v113                           // 000000003378: D2A20049 0002E370
	v_cvt_pk_fp8_f32 v73, v114, v115 op_sel:[0,0,1]            // 000000003380: D2A24049 0002E772
	v_cvt_pk_fp8_f32 v74, v116, v117                           // 000000003388: D2A2004A 0002EB74
	v_cvt_pk_fp8_f32 v74, v118, v119 op_sel:[0,0,1]            // 000000003390: D2A2404A 0002EF76
	v_cvt_pk_fp8_f32 v75, v120, v121                           // 000000003398: D2A2004B 0002F378
	v_cvt_pk_fp8_f32 v75, v122, v123 op_sel:[0,0,1]            // 0000000033A0: D2A2404B 0002F77A
	s_barrier                                                  // 0000000033A8: BF8A0000
	s_waitcnt vmcnt(0)                                         // 0000000033AC: BF8C0F70
	s_waitcnt lgkmcnt(8)                                       // 0000000033B0: BF8CC87F
	s_setprio 1                                                // 0000000033B4: BF8F0001
	s_barrier                                                  // 0000000033B8: BF8A0000
	v_mfma_f32_32x32x64_f8f6f4 v[124:139], v[28:35], v[60:67], v[124:139]// 0000000033BC: D3AE007C 05F2791C
	ds_read_b64_tr_b8 v[52:53], v227 offset:8352               // 0000000033C4: D9C420A0 340000E3
	ds_read_b64_tr_b8 v[54:55], v227 offset:8608               // 0000000033CC: D9C421A0 360000E3
	ds_read_b64_tr_b8 v[56:57], v227 offset:8864               // 0000000033D4: D9C422A0 380000E3
	ds_read_b64_tr_b8 v[58:59], v227 offset:9120               // 0000000033DC: D9C423A0 3A0000E3
	s_waitcnt lgkmcnt(8)                                       // 0000000033E4: BF8CC87F
	v_mfma_f32_32x32x64_f8f6f4 v[124:139], v[36:43], v[68:75], v[124:139]// 0000000033E8: D3AE007C 05F28924
	ds_read_b64_tr_b8 v[28:29], v227 offset:64                 // 0000000033F0: D9C40040 1C0000E3
	ds_read_b64_tr_b8 v[30:31], v227 offset:320                // 0000000033F8: D9C40140 1E0000E3
	ds_read_b64_tr_b8 v[32:33], v227 offset:576                // 000000003400: D9C40240 200000E3
	ds_read_b64_tr_b8 v[34:35], v227 offset:832                // 000000003408: D9C40340 220000E3
	s_waitcnt lgkmcnt(8)                                       // 000000003410: BF8CC87F
	v_mfma_f32_32x32x64_f8f6f4 v[140:155], v[44:51], v[60:67], v[140:155]// 000000003414: D3AE008C 0632792C
	ds_read_b64_tr_b8 v[36:37], v227 offset:8384               // 00000000341C: D9C420C0 240000E3
	ds_read_b64_tr_b8 v[38:39], v227 offset:8640               // 000000003424: D9C421C0 260000E3
	ds_read_b64_tr_b8 v[40:41], v227 offset:8896               // 00000000342C: D9C422C0 280000E3
	ds_read_b64_tr_b8 v[42:43], v227 offset:9152               // 000000003434: D9C423C0 2A0000E3
	s_waitcnt lgkmcnt(8)                                       // 00000000343C: BF8CC87F
	v_mfma_f32_32x32x64_f8f6f4 v[140:155], v[52:59], v[68:75], v[140:155]// 000000003440: D3AE008C 06328934
	ds_read_b64_tr_b8 v[44:45], v227 offset:96                 // 000000003448: D9C40060 2C0000E3
	ds_read_b64_tr_b8 v[46:47], v227 offset:352                // 000000003450: D9C40160 2E0000E3
	ds_read_b64_tr_b8 v[48:49], v227 offset:608                // 000000003458: D9C40260 300000E3
	ds_read_b64_tr_b8 v[50:51], v227 offset:864                // 000000003460: D9C40360 320000E3
	s_waitcnt lgkmcnt(8)                                       // 000000003468: BF8CC87F
	v_mfma_f32_32x32x64_f8f6f4 v[156:171], v[28:35], v[60:67], v[156:171]// 00000000346C: D3AE009C 0672791C
	ds_read_b64_tr_b8 v[52:53], v227 offset:8416               // 000000003474: D9C420E0 340000E3
	ds_read_b64_tr_b8 v[54:55], v227 offset:8672               // 00000000347C: D9C421E0 360000E3
	ds_read_b64_tr_b8 v[56:57], v227 offset:8928               // 000000003484: D9C422E0 380000E3
	ds_read_b64_tr_b8 v[58:59], v227 offset:9184               // 00000000348C: D9C423E0 3A0000E3
	s_waitcnt lgkmcnt(8)                                       // 000000003494: BF8CC87F
	v_mfma_f32_32x32x64_f8f6f4 v[156:171], v[36:43], v[68:75], v[156:171]// 000000003498: D3AE009C 06728924
	ds_read_b128 v[28:31], v226 offset:24960                   // 0000000034A0: D9FE6180 1C0000E2
	ds_read_b128 v[32:35], v226 offset:24992                   // 0000000034A8: D9FE61A0 200000E2
	s_waitcnt lgkmcnt(6)                                       // 0000000034B0: BF8CC67F
	v_mfma_f32_32x32x64_f8f6f4 v[172:187], v[44:51], v[60:67], v[172:187]// 0000000034B4: D3AE00AC 06B2792C
	ds_read_b128 v[36:39], v226 offset:29120                   // 0000000034BC: D9FE71C0 240000E2
	ds_read_b128 v[40:43], v226 offset:29152                   // 0000000034C4: D9FE71E0 280000E2
	s_waitcnt lgkmcnt(4)                                       // 0000000034CC: BF8CC47F
	v_mfma_f32_32x32x64_f8f6f4 v[172:187], v[52:59], v[68:75], v[172:187]// 0000000034D0: D3AE00AC 06B28934
	ds_read_b128 v[44:47], v226 offset:33280                   // 0000000034D8: D9FE8200 2C0000E2
	ds_read_b128 v[48:51], v226 offset:33312                   // 0000000034E0: D9FE8220 300000E2
	s_addk_i32 s72, 0x80                                       // 0000000034E8: B7480080
	s_cmp_lt_i32 s72, s73                                      // 0000000034EC: BF044948
	s_cbranch_scc0 label_0F91                                  // 0000000034F0: BF840B54
	s_waitcnt lgkmcnt(4)                                       // 0000000034F4: BF8CC47F
	v_mfma_f32_32x32x64_f8f6f4 v[60:75], v[28:35], v[4:11], 0  // 0000000034F8: D3AE003C 0202091C
	v_mul_i32_i24_dpp v192, v188, v234 quad_perm:[0,0,0,0] row_mask:0xf bank_mask:0xf// 000000003500: 0D81D4FA FF0000BC
	v_mul_i32_i24_dpp v193, v188, v234 quad_perm:[1,1,1,1] row_mask:0xf bank_mask:0xf// 000000003508: 0D83D4FA FF0055BC
	v_add_u32_e32 v219, v218, v192                             // 000000003510: 69B781DA
	v_add_u32_e32 v220, v218, v193                             // 000000003514: 69B983DA
	ds_read_b128 v[52:55], v226 offset:25472                   // 000000003518: D9FE6380 340000E2
	ds_read_b128 v[56:59], v226 offset:25504                   // 000000003520: D9FE63A0 380000E2
	s_waitcnt lgkmcnt(4)                                       // 000000003528: BF8CC47F
	v_mfma_f32_32x32x64_f8f6f4 v[60:75], v[36:43], v[12:19], v[60:75]// 00000000352C: D3AE003C 04F21924
	s_add_u32 m0, s93, 0                                       // 000000003534: 807C805D
	buffer_load_dwordx4 v219, s[8:11], 0 offen lds             // 000000003538: E05D1000 800200DB
	ds_read_b128 v[28:31], v226 offset:29632                   // 000000003540: D9FE73C0 1C0000E2
	ds_read_b128 v[32:35], v226 offset:29664                   // 000000003548: D9FE73E0 200000E2
	s_waitcnt lgkmcnt(4)                                       // 000000003550: BF8CC47F
	v_mfma_f32_32x32x64_f8f6f4 v[60:75], v[44:51], v[20:27], v[60:75]// 000000003554: D3AE003C 04F2292C
	s_add_u32 m0, s93, 0x410                                   // 00000000355C: 807CFF5D 00000410
	buffer_load_dwordx4 v220, s[8:11], 0 offen lds             // 000000003564: E05D1000 800200DC
	ds_read_b128 v[36:39], v226 offset:33792                   // 00000000356C: D9FE8400 240000E2
	ds_read_b128 v[40:43], v226 offset:33824                   // 000000003574: D9FE8420 280000E2
	s_waitcnt lgkmcnt(4)                                       // 00000000357C: BF8CC47F
	v_mfma_f32_32x32x64_f8f6f4 v[76:91], v[52:59], v[4:11], 0  // 000000003580: D3AE004C 02020934
	s_add_u32 m0, s93, 0x1000                                  // 000000003588: 807CFF5D 00001000
	buffer_load_dwordx4 v219, s[8:11], 0 offen offset:64 lds   // 000000003590: E05D1040 800200DB
	ds_read_b128 v[44:47], v226 offset:37440                   // 000000003598: D9FE9240 2C0000E2
	ds_read_b128 v[48:51], v226 offset:37472                   // 0000000035A0: D9FE9260 300000E2
	s_waitcnt lgkmcnt(4)                                       // 0000000035A8: BF8CC47F
	v_mfma_f32_32x32x64_f8f6f4 v[76:91], v[28:35], v[12:19], v[76:91]// 0000000035AC: D3AE004C 0532191C
	s_add_u32 m0, s93, 0x1410                                  // 0000000035B4: 807CFF5D 00001410
	buffer_load_dwordx4 v220, s[8:11], 0 offen offset:64 lds   // 0000000035BC: E05D1040 800200DC
	ds_read_b128 v[52:55], v226 offset:41600                   // 0000000035C4: D9FEA280 340000E2
	ds_read_b128 v[56:59], v226 offset:41632                   // 0000000035CC: D9FEA2A0 380000E2
	s_waitcnt lgkmcnt(4)                                       // 0000000035D4: BF8CC47F
	v_mfma_f32_32x32x64_f8f6f4 v[76:91], v[36:43], v[20:27], v[76:91]// 0000000035D8: D3AE004C 05322924
	s_add_u32 m0, s93, 0x2000                                  // 0000000035E0: 807CFF5D 00002000
	buffer_load_dwordx4 v219, s[8:11], 0 offen offset:128 lds  // 0000000035E8: E05D1080 800200DB
	ds_read_b128 v[28:31], v226 offset:45760                   // 0000000035F0: D9FEB2C0 1C0000E2
	ds_read_b128 v[32:35], v226 offset:45792                   // 0000000035F8: D9FEB2E0 200000E2
	s_waitcnt lgkmcnt(4)                                       // 000000003600: BF8CC47F
	v_mfma_f32_32x32x64_f8f6f4 v[92:107], v[44:51], v[4:11], 0 // 000000003604: D3AE005C 0202092C
	s_add_u32 m0, s93, 0x2410                                  // 00000000360C: 807CFF5D 00002410
	buffer_load_dwordx4 v220, s[8:11], 0 offen offset:128 lds  // 000000003614: E05D1080 800200DC
	ds_read_b128 v[36:39], v226 offset:37952                   // 00000000361C: D9FE9440 240000E2
	ds_read_b128 v[40:43], v226 offset:37984                   // 000000003624: D9FE9460 280000E2
	s_waitcnt lgkmcnt(4)                                       // 00000000362C: BF8CC47F
	v_mfma_f32_32x32x64_f8f6f4 v[92:107], v[52:59], v[12:19], v[92:107]// 000000003630: D3AE005C 05721934
	ds_read_b128 v[44:47], v226 offset:42112                   // 000000003638: D9FEA480 2C0000E2
	ds_read_b128 v[48:51], v226 offset:42144                   // 000000003640: D9FEA4A0 300000E2
	s_waitcnt lgkmcnt(4)                                       // 000000003648: BF8CC47F
	v_mfma_f32_32x32x64_f8f6f4 v[92:107], v[28:35], v[20:27], v[92:107]// 00000000364C: D3AE005C 0572291C
	ds_read_b128 v[52:55], v226 offset:46272                   // 000000003654: D9FEB4C0 340000E2
	ds_read_b128 v[56:59], v226 offset:46304                   // 00000000365C: D9FEB4E0 380000E2
	s_waitcnt lgkmcnt(4)                                       // 000000003664: BF8CC47F
	v_mfma_f32_32x32x64_f8f6f4 v[108:123], v[36:43], v[4:11], 0// 000000003668: D3AE006C 02020924
	s_barrier                                                  // 000000003670: BF8A0000
	ds_read_b64_tr_b8 v[28:29], v227 offset:16640              // 000000003674: D9C44100 1C0000E3
	ds_read_b64_tr_b8 v[30:31], v227 offset:16896              // 00000000367C: D9C44200 1E0000E3
	ds_read_b64_tr_b8 v[32:33], v227 offset:17152              // 000000003684: D9C44300 200000E3
	ds_read_b64_tr_b8 v[34:35], v227 offset:17408              // 00000000368C: D9C44400 220000E3
	s_waitcnt lgkmcnt(6)                                       // 000000003694: BF8CC67F
	v_mfma_f32_32x32x64_f8f6f4 v[108:123], v[44:51], v[12:19], v[108:123]// 000000003698: D3AE006C 05B2192C
	ds_read_b64_tr_b8 v[36:37], v227 offset:24960              // 0000000036A0: D9C46180 240000E3
	ds_read_b64_tr_b8 v[38:39], v227 offset:25216              // 0000000036A8: D9C46280 260000E3
	ds_read_b64_tr_b8 v[40:41], v227 offset:25472              // 0000000036B0: D9C46380 280000E3
	ds_read_b64_tr_b8 v[42:43], v227 offset:25728              // 0000000036B8: D9C46480 2A0000E3
	s_waitcnt lgkmcnt(8)                                       // 0000000036C0: BF8CC87F
	v_mfma_f32_32x32x64_f8f6f4 v[108:123], v[52:59], v[20:27], v[108:123]// 0000000036C4: D3AE006C 05B22934
	ds_read_b64_tr_b8 v[44:45], v227 offset:16672              // 0000000036CC: D9C44120 2C0000E3
	ds_read_b64_tr_b8 v[46:47], v227 offset:16928              // 0000000036D4: D9C44220 2E0000E3
	ds_read_b64_tr_b8 v[48:49], v227 offset:17184              // 0000000036DC: D9C44320 300000E3
	ds_read_b64_tr_b8 v[50:51], v227 offset:17440              // 0000000036E4: D9C44420 320000E3
	s_nop 5                                                    // 0000000036EC: BF800005
	s_barrier                                                  // 0000000036F0: BF8A0000
	s_setprio 0                                                // 0000000036F4: BF8F0000
	s_barrier                                                  // 0000000036F8: BF8A0000
	v_mov_b32_e32 v201, v200                                   // 0000000036FC: 7F9203C8
	v_max3_f32 v201, v60, v61, v201                            // 000000003700: D1D300C9 07267B3C
	v_max3_f32 v201, v62, v63, v201                            // 000000003708: D1D300C9 07267F3E
	v_max3_f32 v201, v64, v65, v201                            // 000000003710: D1D300C9 07268340
	v_max3_f32 v201, v66, v67, v201                            // 000000003718: D1D300C9 07268742
	v_max3_f32 v201, v68, v69, v201                            // 000000003720: D1D300C9 07268B44
	v_max3_f32 v201, v70, v71, v201                            // 000000003728: D1D300C9 07268F46
	v_max3_f32 v201, v72, v73, v201                            // 000000003730: D1D300C9 07269348
	v_max3_f32 v201, v74, v75, v201                            // 000000003738: D1D300C9 0726974A
	v_max3_f32 v201, v76, v77, v201                            // 000000003740: D1D300C9 07269B4C
	v_max3_f32 v201, v78, v79, v201                            // 000000003748: D1D300C9 07269F4E
	v_max3_f32 v201, v80, v81, v201                            // 000000003750: D1D300C9 0726A350
	v_max3_f32 v201, v82, v83, v201                            // 000000003758: D1D300C9 0726A752
	v_max3_f32 v201, v84, v85, v201                            // 000000003760: D1D300C9 0726AB54
	v_max3_f32 v201, v86, v87, v201                            // 000000003768: D1D300C9 0726AF56
	v_max3_f32 v201, v88, v89, v201                            // 000000003770: D1D300C9 0726B358
	v_max3_f32 v201, v90, v91, v201                            // 000000003778: D1D300C9 0726B75A
	v_max3_f32 v201, v92, v93, v201                            // 000000003780: D1D300C9 0726BB5C
	v_max3_f32 v201, v94, v95, v201                            // 000000003788: D1D300C9 0726BF5E
	v_max3_f32 v201, v96, v97, v201                            // 000000003790: D1D300C9 0726C360
	v_max3_f32 v201, v98, v99, v201                            // 000000003798: D1D300C9 0726C762
	v_max3_f32 v201, v100, v101, v201                          // 0000000037A0: D1D300C9 0726CB64
	v_max3_f32 v201, v102, v103, v201                          // 0000000037A8: D1D300C9 0726CF66
	v_max3_f32 v201, v104, v105, v201                          // 0000000037B0: D1D300C9 0726D368
	v_max3_f32 v201, v106, v107, v201                          // 0000000037B8: D1D300C9 0726D76A
	v_max3_f32 v201, v108, v109, v201                          // 0000000037C0: D1D300C9 0726DB6C
	v_max3_f32 v201, v110, v111, v201                          // 0000000037C8: D1D300C9 0726DF6E
	v_max3_f32 v201, v112, v113, v201                          // 0000000037D0: D1D300C9 0726E370
	v_max3_f32 v201, v114, v115, v201                          // 0000000037D8: D1D300C9 0726E772
	v_max3_f32 v201, v116, v117, v201                          // 0000000037E0: D1D300C9 0726EB74
	v_max3_f32 v201, v118, v119, v201                          // 0000000037E8: D1D300C9 0726EF76
	v_max3_f32 v201, v120, v121, v201                          // 0000000037F0: D1D300C9 0726F378
	v_max3_f32 v201, v122, v123, v201                          // 0000000037F8: D1D300C9 0726F77A
	v_mov_b32_e32 v192, v201                                   // 000000003800: 7F8003C9
	s_nop 1                                                    // 000000003804: BF800001
	s_nop 0                                                    // 000000003808: BF800000
	v_permlane32_swap_b32_e32 v192, v201                       // 00000000380C: 7F80B5C9
	v_max_f32_e32 v201, v201, v192                             // 000000003810: 179381C9
	v_mul_f32_e64 v192, -s54, v201                             // 000000003814: D10500C0 20039236
	v_mov_b32_e32 v193, v192                                   // 00000000381C: 7F8203C0
	v_pk_fma_f32 v[60:61], v[60:61], s[54:55], v[192:193]      // 000000003820: D3B0403C 1F006D3C
	v_pk_fma_f32 v[62:63], v[62:63], s[54:55], v[192:193]      // 000000003828: D3B0403E 1F006D3E
	v_pk_fma_f32 v[64:65], v[64:65], s[54:55], v[192:193]      // 000000003830: D3B04040 1F006D40
	v_pk_fma_f32 v[66:67], v[66:67], s[54:55], v[192:193]      // 000000003838: D3B04042 1F006D42
	v_pk_fma_f32 v[68:69], v[68:69], s[54:55], v[192:193]      // 000000003840: D3B04044 1F006D44
	v_pk_fma_f32 v[70:71], v[70:71], s[54:55], v[192:193]      // 000000003848: D3B04046 1F006D46
	v_pk_fma_f32 v[72:73], v[72:73], s[54:55], v[192:193]      // 000000003850: D3B04048 1F006D48
	v_pk_fma_f32 v[74:75], v[74:75], s[54:55], v[192:193]      // 000000003858: D3B0404A 1F006D4A
	v_pk_fma_f32 v[76:77], v[76:77], s[54:55], v[192:193]      // 000000003860: D3B0404C 1F006D4C
	v_pk_fma_f32 v[78:79], v[78:79], s[54:55], v[192:193]      // 000000003868: D3B0404E 1F006D4E
	v_pk_fma_f32 v[80:81], v[80:81], s[54:55], v[192:193]      // 000000003870: D3B04050 1F006D50
	v_pk_fma_f32 v[82:83], v[82:83], s[54:55], v[192:193]      // 000000003878: D3B04052 1F006D52
	v_pk_fma_f32 v[84:85], v[84:85], s[54:55], v[192:193]      // 000000003880: D3B04054 1F006D54
	v_pk_fma_f32 v[86:87], v[86:87], s[54:55], v[192:193]      // 000000003888: D3B04056 1F006D56
	v_pk_fma_f32 v[88:89], v[88:89], s[54:55], v[192:193]      // 000000003890: D3B04058 1F006D58
	v_pk_fma_f32 v[90:91], v[90:91], s[54:55], v[192:193]      // 000000003898: D3B0405A 1F006D5A
	v_pk_fma_f32 v[92:93], v[92:93], s[54:55], v[192:193]      // 0000000038A0: D3B0405C 1F006D5C
	v_pk_fma_f32 v[94:95], v[94:95], s[54:55], v[192:193]      // 0000000038A8: D3B0405E 1F006D5E
	v_pk_fma_f32 v[96:97], v[96:97], s[54:55], v[192:193]      // 0000000038B0: D3B04060 1F006D60
	v_pk_fma_f32 v[98:99], v[98:99], s[54:55], v[192:193]      // 0000000038B8: D3B04062 1F006D62
	v_pk_fma_f32 v[100:101], v[100:101], s[54:55], v[192:193]  // 0000000038C0: D3B04064 1F006D64
	v_pk_fma_f32 v[102:103], v[102:103], s[54:55], v[192:193]  // 0000000038C8: D3B04066 1F006D66
	v_pk_fma_f32 v[104:105], v[104:105], s[54:55], v[192:193]  // 0000000038D0: D3B04068 1F006D68
	v_pk_fma_f32 v[106:107], v[106:107], s[54:55], v[192:193]  // 0000000038D8: D3B0406A 1F006D6A
	v_pk_fma_f32 v[108:109], v[108:109], s[54:55], v[192:193]  // 0000000038E0: D3B0406C 1F006D6C
	v_pk_fma_f32 v[110:111], v[110:111], s[54:55], v[192:193]  // 0000000038E8: D3B0406E 1F006D6E
	v_pk_fma_f32 v[112:113], v[112:113], s[54:55], v[192:193]  // 0000000038F0: D3B04070 1F006D70
	v_pk_fma_f32 v[114:115], v[114:115], s[54:55], v[192:193]  // 0000000038F8: D3B04072 1F006D72
	v_pk_fma_f32 v[116:117], v[116:117], s[54:55], v[192:193]  // 000000003900: D3B04074 1F006D74
	v_pk_fma_f32 v[118:119], v[118:119], s[54:55], v[192:193]  // 000000003908: D3B04076 1F006D76
	v_pk_fma_f32 v[120:121], v[120:121], s[54:55], v[192:193]  // 000000003910: D3B04078 1F006D78
	v_pk_fma_f32 v[122:123], v[122:123], s[54:55], v[192:193]  // 000000003918: D3B0407A 1F006D7A
	s_barrier                                                  // 000000003920: BF8A0000
	v_exp_f32_e32 v60, v60                                     // 000000003924: 7E78413C
	v_exp_f32_e32 v61, v61                                     // 000000003928: 7E7A413D
	v_exp_f32_e32 v62, v62                                     // 00000000392C: 7E7C413E
	v_exp_f32_e32 v63, v63                                     // 000000003930: 7E7E413F
	v_exp_f32_e32 v64, v64                                     // 000000003934: 7E804140
	v_exp_f32_e32 v65, v65                                     // 000000003938: 7E824141
	v_exp_f32_e32 v66, v66                                     // 00000000393C: 7E844142
	v_exp_f32_e32 v67, v67                                     // 000000003940: 7E864143
	v_exp_f32_e32 v68, v68                                     // 000000003944: 7E884144
	v_exp_f32_e32 v69, v69                                     // 000000003948: 7E8A4145
	v_exp_f32_e32 v70, v70                                     // 00000000394C: 7E8C4146
	v_exp_f32_e32 v71, v71                                     // 000000003950: 7E8E4147
	v_exp_f32_e32 v72, v72                                     // 000000003954: 7E904148
	v_exp_f32_e32 v73, v73                                     // 000000003958: 7E924149
	v_exp_f32_e32 v74, v74                                     // 00000000395C: 7E94414A
	v_exp_f32_e32 v75, v75                                     // 000000003960: 7E96414B
	v_exp_f32_e32 v76, v76                                     // 000000003964: 7E98414C
	v_exp_f32_e32 v77, v77                                     // 000000003968: 7E9A414D
	v_exp_f32_e32 v78, v78                                     // 00000000396C: 7E9C414E
	v_exp_f32_e32 v79, v79                                     // 000000003970: 7E9E414F
	v_exp_f32_e32 v80, v80                                     // 000000003974: 7EA04150
	v_exp_f32_e32 v81, v81                                     // 000000003978: 7EA24151
	v_exp_f32_e32 v82, v82                                     // 00000000397C: 7EA44152
	v_exp_f32_e32 v83, v83                                     // 000000003980: 7EA64153
	v_exp_f32_e32 v84, v84                                     // 000000003984: 7EA84154
	v_exp_f32_e32 v85, v85                                     // 000000003988: 7EAA4155
	v_exp_f32_e32 v86, v86                                     // 00000000398C: 7EAC4156
	v_exp_f32_e32 v87, v87                                     // 000000003990: 7EAE4157
	v_exp_f32_e32 v88, v88                                     // 000000003994: 7EB04158
	v_exp_f32_e32 v89, v89                                     // 000000003998: 7EB24159
	v_exp_f32_e32 v90, v90                                     // 00000000399C: 7EB4415A
	v_exp_f32_e32 v91, v91                                     // 0000000039A0: 7EB6415B
	v_exp_f32_e32 v92, v92                                     // 0000000039A4: 7EB8415C
	v_exp_f32_e32 v93, v93                                     // 0000000039A8: 7EBA415D
	v_exp_f32_e32 v94, v94                                     // 0000000039AC: 7EBC415E
	v_exp_f32_e32 v95, v95                                     // 0000000039B0: 7EBE415F
	v_exp_f32_e32 v96, v96                                     // 0000000039B4: 7EC04160
	v_exp_f32_e32 v97, v97                                     // 0000000039B8: 7EC24161
	v_exp_f32_e32 v98, v98                                     // 0000000039BC: 7EC44162
	v_exp_f32_e32 v99, v99                                     // 0000000039C0: 7EC64163
	v_exp_f32_e32 v100, v100                                   // 0000000039C4: 7EC84164
	v_exp_f32_e32 v101, v101                                   // 0000000039C8: 7ECA4165
	v_exp_f32_e32 v102, v102                                   // 0000000039CC: 7ECC4166
	v_exp_f32_e32 v103, v103                                   // 0000000039D0: 7ECE4167
	v_exp_f32_e32 v104, v104                                   // 0000000039D4: 7ED04168
	v_exp_f32_e32 v105, v105                                   // 0000000039D8: 7ED24169
	v_exp_f32_e32 v106, v106                                   // 0000000039DC: 7ED4416A
	v_exp_f32_e32 v107, v107                                   // 0000000039E0: 7ED6416B
	v_exp_f32_e32 v108, v108                                   // 0000000039E4: 7ED8416C
	v_exp_f32_e32 v109, v109                                   // 0000000039E8: 7EDA416D
	v_exp_f32_e32 v110, v110                                   // 0000000039EC: 7EDC416E
	v_exp_f32_e32 v111, v111                                   // 0000000039F0: 7EDE416F
	v_exp_f32_e32 v112, v112                                   // 0000000039F4: 7EE04170
	v_exp_f32_e32 v113, v113                                   // 0000000039F8: 7EE24171
	v_exp_f32_e32 v114, v114                                   // 0000000039FC: 7EE44172
	v_exp_f32_e32 v115, v115                                   // 000000003A00: 7EE64173
	v_exp_f32_e32 v116, v116                                   // 000000003A04: 7EE84174
	v_exp_f32_e32 v117, v117                                   // 000000003A08: 7EEA4175
	v_exp_f32_e32 v118, v118                                   // 000000003A0C: 7EEC4176
	v_exp_f32_e32 v119, v119                                   // 000000003A10: 7EEE4177
	v_exp_f32_e32 v120, v120                                   // 000000003A14: 7EF04178
	v_exp_f32_e32 v121, v121                                   // 000000003A18: 7EF24179
	v_exp_f32_e32 v122, v122                                   // 000000003A1C: 7EF4417A
	v_exp_f32_e32 v123, v123                                   // 000000003A20: 7EF6417B
	v_sub_f32_e32 v196, v200, v201                             // 000000003A24: 058993C8
	v_cmp_eq_u32_e64 s[64:65], v205, v200                      // 000000003A28: D0CA0040 000391CD
	s_nop 0                                                    // 000000003A30: BF800000
	v_cndmask_b32_e64 v196, v196, 0, s[64:65]                  // 000000003A34: D10000C4 010101C4
	v_mov_b32_e32 v200, v201                                   // 000000003A3C: 7F9003C9
	v_mul_f32_e32 v196, s54, v196                              // 000000003A40: 0B898836
	v_exp_f32_e32 v196, v196                                   // 000000003A44: 7F8841C4
	s_nop 0                                                    // 000000003A48: BF800000
	v_mul_f32_e32 v198, v196, v198                             // 000000003A4C: 0B8D8DC4
	v_add_f32_e32 v198, v60, v198                              // 000000003A50: 038D8D3C
	v_add_f32_e32 v198, v61, v198                              // 000000003A54: 038D8D3D
	v_add_f32_e32 v198, v62, v198                              // 000000003A58: 038D8D3E
	v_add_f32_e32 v198, v63, v198                              // 000000003A5C: 038D8D3F
	v_add_f32_e32 v198, v64, v198                              // 000000003A60: 038D8D40
	v_add_f32_e32 v198, v65, v198                              // 000000003A64: 038D8D41
	v_add_f32_e32 v198, v66, v198                              // 000000003A68: 038D8D42
	v_add_f32_e32 v198, v67, v198                              // 000000003A6C: 038D8D43
	v_add_f32_e32 v198, v68, v198                              // 000000003A70: 038D8D44
	v_add_f32_e32 v198, v69, v198                              // 000000003A74: 038D8D45
	v_add_f32_e32 v198, v70, v198                              // 000000003A78: 038D8D46
	v_add_f32_e32 v198, v71, v198                              // 000000003A7C: 038D8D47
	v_add_f32_e32 v198, v72, v198                              // 000000003A80: 038D8D48
	v_add_f32_e32 v198, v73, v198                              // 000000003A84: 038D8D49
	v_add_f32_e32 v198, v74, v198                              // 000000003A88: 038D8D4A
	v_add_f32_e32 v198, v75, v198                              // 000000003A8C: 038D8D4B
	v_add_f32_e32 v198, v76, v198                              // 000000003A90: 038D8D4C
	v_add_f32_e32 v198, v77, v198                              // 000000003A94: 038D8D4D
	v_add_f32_e32 v198, v78, v198                              // 000000003A98: 038D8D4E
	v_add_f32_e32 v198, v79, v198                              // 000000003A9C: 038D8D4F
	v_add_f32_e32 v198, v80, v198                              // 000000003AA0: 038D8D50
	v_add_f32_e32 v198, v81, v198                              // 000000003AA4: 038D8D51
	v_add_f32_e32 v198, v82, v198                              // 000000003AA8: 038D8D52
	v_add_f32_e32 v198, v83, v198                              // 000000003AAC: 038D8D53
	v_add_f32_e32 v198, v84, v198                              // 000000003AB0: 038D8D54
	v_add_f32_e32 v198, v85, v198                              // 000000003AB4: 038D8D55
	v_add_f32_e32 v198, v86, v198                              // 000000003AB8: 038D8D56
	v_add_f32_e32 v198, v87, v198                              // 000000003ABC: 038D8D57
	v_add_f32_e32 v198, v88, v198                              // 000000003AC0: 038D8D58
	v_add_f32_e32 v198, v89, v198                              // 000000003AC4: 038D8D59
	v_add_f32_e32 v198, v90, v198                              // 000000003AC8: 038D8D5A
	v_add_f32_e32 v198, v91, v198                              // 000000003ACC: 038D8D5B
	v_add_f32_e32 v198, v92, v198                              // 000000003AD0: 038D8D5C
	v_add_f32_e32 v198, v93, v198                              // 000000003AD4: 038D8D5D
	v_add_f32_e32 v198, v94, v198                              // 000000003AD8: 038D8D5E
	v_add_f32_e32 v198, v95, v198                              // 000000003ADC: 038D8D5F
	v_add_f32_e32 v198, v96, v198                              // 000000003AE0: 038D8D60
	v_add_f32_e32 v198, v97, v198                              // 000000003AE4: 038D8D61
	v_add_f32_e32 v198, v98, v198                              // 000000003AE8: 038D8D62
	v_add_f32_e32 v198, v99, v198                              // 000000003AEC: 038D8D63
	v_add_f32_e32 v198, v100, v198                             // 000000003AF0: 038D8D64
	v_add_f32_e32 v198, v101, v198                             // 000000003AF4: 038D8D65
	v_add_f32_e32 v198, v102, v198                             // 000000003AF8: 038D8D66
	v_add_f32_e32 v198, v103, v198                             // 000000003AFC: 038D8D67
	v_add_f32_e32 v198, v104, v198                             // 000000003B00: 038D8D68
	v_add_f32_e32 v198, v105, v198                             // 000000003B04: 038D8D69
	v_add_f32_e32 v198, v106, v198                             // 000000003B08: 038D8D6A
	v_add_f32_e32 v198, v107, v198                             // 000000003B0C: 038D8D6B
	v_add_f32_e32 v198, v108, v198                             // 000000003B10: 038D8D6C
	v_add_f32_e32 v198, v109, v198                             // 000000003B14: 038D8D6D
	v_add_f32_e32 v198, v110, v198                             // 000000003B18: 038D8D6E
	v_add_f32_e32 v198, v111, v198                             // 000000003B1C: 038D8D6F
	v_add_f32_e32 v198, v112, v198                             // 000000003B20: 038D8D70
	v_add_f32_e32 v198, v113, v198                             // 000000003B24: 038D8D71
	v_add_f32_e32 v198, v114, v198                             // 000000003B28: 038D8D72
	v_add_f32_e32 v198, v115, v198                             // 000000003B2C: 038D8D73
	v_add_f32_e32 v198, v116, v198                             // 000000003B30: 038D8D74
	v_add_f32_e32 v198, v117, v198                             // 000000003B34: 038D8D75
	v_add_f32_e32 v198, v118, v198                             // 000000003B38: 038D8D76
	v_add_f32_e32 v198, v119, v198                             // 000000003B3C: 038D8D77
	v_add_f32_e32 v198, v120, v198                             // 000000003B40: 038D8D78
	v_add_f32_e32 v198, v121, v198                             // 000000003B44: 038D8D79
	v_add_f32_e32 v198, v122, v198                             // 000000003B48: 038D8D7A
	v_add_f32_e32 v198, v123, v198                             // 000000003B4C: 038D8D7B
	v_mul_f32_e32 v124, v196, v124                             // 000000003B50: 0AF8F9C4
	v_mul_f32_e32 v125, v196, v125                             // 000000003B54: 0AFAFBC4
	v_mul_f32_e32 v126, v196, v126                             // 000000003B58: 0AFCFDC4
	v_mul_f32_e32 v127, v196, v127                             // 000000003B5C: 0AFEFFC4
	v_mul_f32_e32 v128, v196, v128                             // 000000003B60: 0B0101C4
	v_mul_f32_e32 v129, v196, v129                             // 000000003B64: 0B0303C4
	v_mul_f32_e32 v130, v196, v130                             // 000000003B68: 0B0505C4
	v_mul_f32_e32 v131, v196, v131                             // 000000003B6C: 0B0707C4
	v_mul_f32_e32 v132, v196, v132                             // 000000003B70: 0B0909C4
	v_mul_f32_e32 v133, v196, v133                             // 000000003B74: 0B0B0BC4
	v_mul_f32_e32 v134, v196, v134                             // 000000003B78: 0B0D0DC4
	v_mul_f32_e32 v135, v196, v135                             // 000000003B7C: 0B0F0FC4
	v_mul_f32_e32 v136, v196, v136                             // 000000003B80: 0B1111C4
	v_mul_f32_e32 v137, v196, v137                             // 000000003B84: 0B1313C4
	v_mul_f32_e32 v138, v196, v138                             // 000000003B88: 0B1515C4
	v_mul_f32_e32 v139, v196, v139                             // 000000003B8C: 0B1717C4
	v_mul_f32_e32 v140, v196, v140                             // 000000003B90: 0B1919C4
	v_mul_f32_e32 v141, v196, v141                             // 000000003B94: 0B1B1BC4
	v_mul_f32_e32 v142, v196, v142                             // 000000003B98: 0B1D1DC4
	v_mul_f32_e32 v143, v196, v143                             // 000000003B9C: 0B1F1FC4
	v_mul_f32_e32 v144, v196, v144                             // 000000003BA0: 0B2121C4
	v_mul_f32_e32 v145, v196, v145                             // 000000003BA4: 0B2323C4
	v_mul_f32_e32 v146, v196, v146                             // 000000003BA8: 0B2525C4
	v_mul_f32_e32 v147, v196, v147                             // 000000003BAC: 0B2727C4
	v_mul_f32_e32 v148, v196, v148                             // 000000003BB0: 0B2929C4
	v_mul_f32_e32 v149, v196, v149                             // 000000003BB4: 0B2B2BC4
	v_mul_f32_e32 v150, v196, v150                             // 000000003BB8: 0B2D2DC4
	v_mul_f32_e32 v151, v196, v151                             // 000000003BBC: 0B2F2FC4
	v_mul_f32_e32 v152, v196, v152                             // 000000003BC0: 0B3131C4
	v_mul_f32_e32 v153, v196, v153                             // 000000003BC4: 0B3333C4
	v_mul_f32_e32 v154, v196, v154                             // 000000003BC8: 0B3535C4
	v_mul_f32_e32 v155, v196, v155                             // 000000003BCC: 0B3737C4
	v_mul_f32_e32 v156, v196, v156                             // 000000003BD0: 0B3939C4
	v_mul_f32_e32 v157, v196, v157                             // 000000003BD4: 0B3B3BC4
	v_mul_f32_e32 v158, v196, v158                             // 000000003BD8: 0B3D3DC4
	v_mul_f32_e32 v159, v196, v159                             // 000000003BDC: 0B3F3FC4
	v_mul_f32_e32 v160, v196, v160                             // 000000003BE0: 0B4141C4
	v_mul_f32_e32 v161, v196, v161                             // 000000003BE4: 0B4343C4
	v_mul_f32_e32 v162, v196, v162                             // 000000003BE8: 0B4545C4
	v_mul_f32_e32 v163, v196, v163                             // 000000003BEC: 0B4747C4
	v_mul_f32_e32 v164, v196, v164                             // 000000003BF0: 0B4949C4
	v_mul_f32_e32 v165, v196, v165                             // 000000003BF4: 0B4B4BC4
	v_mul_f32_e32 v166, v196, v166                             // 000000003BF8: 0B4D4DC4
	v_mul_f32_e32 v167, v196, v167                             // 000000003BFC: 0B4F4FC4
	v_mul_f32_e32 v168, v196, v168                             // 000000003C00: 0B5151C4
	v_mul_f32_e32 v169, v196, v169                             // 000000003C04: 0B5353C4
	v_mul_f32_e32 v170, v196, v170                             // 000000003C08: 0B5555C4
	v_mul_f32_e32 v171, v196, v171                             // 000000003C0C: 0B5757C4
	v_mul_f32_e32 v172, v196, v172                             // 000000003C10: 0B5959C4
	v_mul_f32_e32 v173, v196, v173                             // 000000003C14: 0B5B5BC4
	v_mul_f32_e32 v174, v196, v174                             // 000000003C18: 0B5D5DC4
	v_mul_f32_e32 v175, v196, v175                             // 000000003C1C: 0B5F5FC4
	v_mul_f32_e32 v176, v196, v176                             // 000000003C20: 0B6161C4
	v_mul_f32_e32 v177, v196, v177                             // 000000003C24: 0B6363C4
	v_mul_f32_e32 v178, v196, v178                             // 000000003C28: 0B6565C4
	v_mul_f32_e32 v179, v196, v179                             // 000000003C2C: 0B6767C4
	v_mul_f32_e32 v180, v196, v180                             // 000000003C30: 0B6969C4
	v_mul_f32_e32 v181, v196, v181                             // 000000003C34: 0B6B6BC4
	v_mul_f32_e32 v182, v196, v182                             // 000000003C38: 0B6D6DC4
	v_mul_f32_e32 v183, v196, v183                             // 000000003C3C: 0B6F6FC4
	v_mul_f32_e32 v184, v196, v184                             // 000000003C40: 0B7171C4
	v_mul_f32_e32 v185, v196, v185                             // 000000003C44: 0B7373C4
	v_mul_f32_e32 v186, v196, v186                             // 000000003C48: 0B7575C4
	v_mul_f32_e32 v187, v196, v187                             // 000000003C4C: 0B7777C4
	v_mov_b32_e32 v197, v196                                   // 000000003C50: 7F8A03C4
	s_barrier                                                  // 000000003C54: BF8A0000
	v_cvt_pk_fp8_f32 v60, v60, v61                             // 000000003C58: D2A2003C 00027B3C
	v_cvt_pk_fp8_f32 v60, v62, v63 op_sel:[0,0,1]              // 000000003C60: D2A2403C 00027F3E
	v_cvt_pk_fp8_f32 v61, v64, v65                             // 000000003C68: D2A2003D 00028340
	v_cvt_pk_fp8_f32 v61, v66, v67 op_sel:[0,0,1]              // 000000003C70: D2A2403D 00028742
	v_cvt_pk_fp8_f32 v62, v68, v69                             // 000000003C78: D2A2003E 00028B44
	v_cvt_pk_fp8_f32 v62, v70, v71 op_sel:[0,0,1]              // 000000003C80: D2A2403E 00028F46
	v_cvt_pk_fp8_f32 v63, v72, v73                             // 000000003C88: D2A2003F 00029348
	v_cvt_pk_fp8_f32 v63, v74, v75 op_sel:[0,0,1]              // 000000003C90: D2A2403F 0002974A
	v_cvt_pk_fp8_f32 v64, v76, v77                             // 000000003C98: D2A20040 00029B4C
	v_cvt_pk_fp8_f32 v64, v78, v79 op_sel:[0,0,1]              // 000000003CA0: D2A24040 00029F4E
	v_cvt_pk_fp8_f32 v65, v80, v81                             // 000000003CA8: D2A20041 0002A350
	v_cvt_pk_fp8_f32 v65, v82, v83 op_sel:[0,0,1]              // 000000003CB0: D2A24041 0002A752
	v_cvt_pk_fp8_f32 v66, v84, v85                             // 000000003CB8: D2A20042 0002AB54
	v_cvt_pk_fp8_f32 v66, v86, v87 op_sel:[0,0,1]              // 000000003CC0: D2A24042 0002AF56
	v_cvt_pk_fp8_f32 v67, v88, v89                             // 000000003CC8: D2A20043 0002B358
	v_cvt_pk_fp8_f32 v67, v90, v91 op_sel:[0,0,1]              // 000000003CD0: D2A24043 0002B75A
	v_cvt_pk_fp8_f32 v68, v92, v93                             // 000000003CD8: D2A20044 0002BB5C
	v_cvt_pk_fp8_f32 v68, v94, v95 op_sel:[0,0,1]              // 000000003CE0: D2A24044 0002BF5E
	v_cvt_pk_fp8_f32 v69, v96, v97                             // 000000003CE8: D2A20045 0002C360
	v_cvt_pk_fp8_f32 v69, v98, v99 op_sel:[0,0,1]              // 000000003CF0: D2A24045 0002C762
	v_cvt_pk_fp8_f32 v70, v100, v101                           // 000000003CF8: D2A20046 0002CB64
	v_cvt_pk_fp8_f32 v70, v102, v103 op_sel:[0,0,1]            // 000000003D00: D2A24046 0002CF66
	v_cvt_pk_fp8_f32 v71, v104, v105                           // 000000003D08: D2A20047 0002D368
	v_cvt_pk_fp8_f32 v71, v106, v107 op_sel:[0,0,1]            // 000000003D10: D2A24047 0002D76A
	v_cvt_pk_fp8_f32 v72, v108, v109                           // 000000003D18: D2A20048 0002DB6C
	v_cvt_pk_fp8_f32 v72, v110, v111 op_sel:[0,0,1]            // 000000003D20: D2A24048 0002DF6E
	v_cvt_pk_fp8_f32 v73, v112, v113                           // 000000003D28: D2A20049 0002E370
	v_cvt_pk_fp8_f32 v73, v114, v115 op_sel:[0,0,1]            // 000000003D30: D2A24049 0002E772
	v_cvt_pk_fp8_f32 v74, v116, v117                           // 000000003D38: D2A2004A 0002EB74
	v_cvt_pk_fp8_f32 v74, v118, v119 op_sel:[0,0,1]            // 000000003D40: D2A2404A 0002EF76
	v_cvt_pk_fp8_f32 v75, v120, v121                           // 000000003D48: D2A2004B 0002F378
	v_cvt_pk_fp8_f32 v75, v122, v123 op_sel:[0,0,1]            // 000000003D50: D2A2404B 0002F77A
	s_barrier                                                  // 000000003D58: BF8A0000
	s_waitcnt vmcnt(0)                                         // 000000003D5C: BF8C0F70
	s_waitcnt lgkmcnt(8)                                       // 000000003D60: BF8CC87F
	s_setprio 1                                                // 000000003D64: BF8F0001
	s_barrier                                                  // 000000003D68: BF8A0000
	v_mfma_f32_32x32x64_f8f6f4 v[124:139], v[28:35], v[60:67], v[124:139]// 000000003D6C: D3AE007C 05F2791C
	ds_read_b64_tr_b8 v[52:53], v227 offset:24992              // 000000003D74: D9C461A0 340000E3
	ds_read_b64_tr_b8 v[54:55], v227 offset:25248              // 000000003D7C: D9C462A0 360000E3
	ds_read_b64_tr_b8 v[56:57], v227 offset:25504              // 000000003D84: D9C463A0 380000E3
	ds_read_b64_tr_b8 v[58:59], v227 offset:25760              // 000000003D8C: D9C464A0 3A0000E3
	s_waitcnt lgkmcnt(8)                                       // 000000003D94: BF8CC87F
	v_mfma_f32_32x32x64_f8f6f4 v[124:139], v[36:43], v[68:75], v[124:139]// 000000003D98: D3AE007C 05F28924
	ds_read_b64_tr_b8 v[28:29], v227 offset:16704              // 000000003DA0: D9C44140 1C0000E3
	ds_read_b64_tr_b8 v[30:31], v227 offset:16960              // 000000003DA8: D9C44240 1E0000E3
	ds_read_b64_tr_b8 v[32:33], v227 offset:17216              // 000000003DB0: D9C44340 200000E3
	ds_read_b64_tr_b8 v[34:35], v227 offset:17472              // 000000003DB8: D9C44440 220000E3
	s_waitcnt lgkmcnt(8)                                       // 000000003DC0: BF8CC87F
	v_mfma_f32_32x32x64_f8f6f4 v[140:155], v[44:51], v[60:67], v[140:155]// 000000003DC4: D3AE008C 0632792C
	ds_read_b64_tr_b8 v[36:37], v227 offset:25024              // 000000003DCC: D9C461C0 240000E3
	ds_read_b64_tr_b8 v[38:39], v227 offset:25280              // 000000003DD4: D9C462C0 260000E3
	ds_read_b64_tr_b8 v[40:41], v227 offset:25536              // 000000003DDC: D9C463C0 280000E3
	ds_read_b64_tr_b8 v[42:43], v227 offset:25792              // 000000003DE4: D9C464C0 2A0000E3
	s_waitcnt lgkmcnt(8)                                       // 000000003DEC: BF8CC87F
	v_mfma_f32_32x32x64_f8f6f4 v[140:155], v[52:59], v[68:75], v[140:155]// 000000003DF0: D3AE008C 06328934
	ds_read_b64_tr_b8 v[44:45], v227 offset:16736              // 000000003DF8: D9C44160 2C0000E3
	ds_read_b64_tr_b8 v[46:47], v227 offset:16992              // 000000003E00: D9C44260 2E0000E3
	ds_read_b64_tr_b8 v[48:49], v227 offset:17248              // 000000003E08: D9C44360 300000E3
	ds_read_b64_tr_b8 v[50:51], v227 offset:17504              // 000000003E10: D9C44460 320000E3
	s_waitcnt lgkmcnt(8)                                       // 000000003E18: BF8CC87F
	v_mfma_f32_32x32x64_f8f6f4 v[156:171], v[28:35], v[60:67], v[156:171]// 000000003E1C: D3AE009C 0672791C
	ds_read_b64_tr_b8 v[52:53], v227 offset:25056              // 000000003E24: D9C461E0 340000E3
	ds_read_b64_tr_b8 v[54:55], v227 offset:25312              // 000000003E2C: D9C462E0 360000E3
	ds_read_b64_tr_b8 v[56:57], v227 offset:25568              // 000000003E34: D9C463E0 380000E3
	ds_read_b64_tr_b8 v[58:59], v227 offset:25824              // 000000003E3C: D9C464E0 3A0000E3
	s_waitcnt lgkmcnt(8)                                       // 000000003E44: BF8CC87F
	v_mfma_f32_32x32x64_f8f6f4 v[156:171], v[36:43], v[68:75], v[156:171]// 000000003E48: D3AE009C 06728924
	ds_read_b128 v[28:31], v226                                // 000000003E50: D9FE0000 1C0000E2
	ds_read_b128 v[32:35], v226 offset:32                      // 000000003E58: D9FE0020 200000E2
	s_waitcnt lgkmcnt(6)                                       // 000000003E60: BF8CC67F
	v_mfma_f32_32x32x64_f8f6f4 v[172:187], v[44:51], v[60:67], v[172:187]// 000000003E64: D3AE00AC 06B2792C
	ds_read_b128 v[36:39], v226 offset:4160                    // 000000003E6C: D9FE1040 240000E2
	ds_read_b128 v[40:43], v226 offset:4192                    // 000000003E74: D9FE1060 280000E2
	s_waitcnt lgkmcnt(4)                                       // 000000003E7C: BF8CC47F
	v_mfma_f32_32x32x64_f8f6f4 v[172:187], v[52:59], v[68:75], v[172:187]// 000000003E80: D3AE00AC 06B28934
	ds_read_b128 v[44:47], v226 offset:8320                    // 000000003E88: D9FE2080 2C0000E2
	ds_read_b128 v[48:51], v226 offset:8352                    // 000000003E90: D9FE20A0 300000E2
	s_addk_i32 s72, 0x80                                       // 000000003E98: B7480080
	s_branch label_01CA                                        // 000000003E9C: BF82FB22

0000000000003ea0 <label_06A8>:
	s_setprio 0                                                // 000000003EA0: BF8F0000
	s_lshl_b32 s64, s88, 2                                     // 000000003EA4: 8E408258
	v_add_u32_e32 v217, s64, v216                              // 000000003EA8: 69B3B040
	buffer_load_dword v189, v217, s[44:47], 0 offen            // 000000003EAC: E0501000 800BBDD9
	buffer_load_dword v190, v217, s[44:47], 0 offen offset:512 // 000000003EB4: E0501200 800BBED9
	v_add_u32_e32 v217, 0x400, v217                            // 000000003EBC: 69B3B2FF 00000400
	s_mul_i32 s64, s86, s74                                    // 000000003EC4: 92404A56
	s_mul_i32 s65, s91, 0xc0                                   // 000000003EC8: 9241FF5B 000000C0
	s_add_u32 s64, s64, s65                                    // 000000003ED0: 80404140
	v_add_u32_e32 v211, s64, v209                              // 000000003ED4: 69A7A240
	v_add_u32_e32 v212, s64, v210                              // 000000003ED8: 69A9A440
	s_add_u32 m0, s92, 0                                       // 000000003EDC: 807C805C
	buffer_load_dwordx4 v211, s[4:7], 0 offen lds              // 000000003EE0: E05D1000 800100D3
	s_add_u32 m0, s92, 0x410                                   // 000000003EE8: 807CFF5C 00000410
	buffer_load_dwordx4 v212, s[4:7], 0 offen lds              // 000000003EF0: E05D1000 800100D4
	s_add_u32 m0, s92, 0x1000                                  // 000000003EF8: 807CFF5C 00001000
	buffer_load_dwordx4 v211, s[4:7], 0 offen offset:64 lds    // 000000003F00: E05D1040 800100D3
	s_add_u32 m0, s92, 0x1410                                  // 000000003F08: 807CFF5C 00001410
	buffer_load_dwordx4 v212, s[4:7], 0 offen offset:64 lds    // 000000003F10: E05D1040 800100D4
	s_add_u32 m0, s92, 0x2000                                  // 000000003F18: 807CFF5C 00002000
	buffer_load_dwordx4 v211, s[4:7], 0 offen offset:128 lds   // 000000003F20: E05D1080 800100D3
	s_add_u32 m0, s92, 0x2410                                  // 000000003F28: 807CFF5C 00002410
	buffer_load_dwordx4 v212, s[4:7], 0 offen offset:128 lds   // 000000003F30: E05D1080 800100D4
	v_mov_b32_e32 v202, s89                                    // 000000003F38: 7F940259
	s_and_b32 s73, s89, 0xffffff80                             // 000000003F3C: 8649FF59 FFFFFF80
	s_mul_i32 s64, s86, s75                                    // 000000003F44: 92404B56
	s_mul_i32 s65, s91, 0x80                                   // 000000003F48: 9241FF5B 00000080
	s_add_u32 s64, s64, s65                                    // 000000003F50: 80404140
	s_lshl_b32 s64, s64, 1                                     // 000000003F54: 8E408140
	v_add_u32_e32 v229, s64, v228                              // 000000003F58: 69CBC840
	s_mul_i32 s64, s87, s75                                    // 000000003F5C: 92404B57
	s_lshl_b32 s18, s64, 1                                     // 000000003F60: 8E128140
	s_mul_i32 s64, s91, 0x80                                   // 000000003F64: 9240FF5B 00000080
	s_mul_i32 s65, s85, s75                                    // 000000003F6C: 92414B55
	s_add_u32 s65, s64, s65                                    // 000000003F70: 80414140
	s_lshl_b32 s64, s65, 2                                     // 000000003F74: 8E408241
	v_add_u32_e32 v231, s64, v230                              // 000000003F78: 69CFCC40
	s_mul_i32 s65, s85, s58                                    // 000000003F7C: 92413A55
	s_add_i32 s64, s91, s65                                    // 000000003F80: 8140415B
	s_lshl_b32 s64, s64, 2                                     // 000000003F84: 8E408240
	v_add_u32_e32 v233, s64, v232                              // 000000003F88: 69D3D040
	s_mul_i32 s64, s91, 0x80                                   // 000000003F8C: 9240FF5B 00000080
	v_and_b32_e32 v192, 7, v0                                  // 000000003F94: 27800087
	v_lshlrev_b32_e32 v192, 4, v192                            // 000000003F98: 25818084
	v_add_u32_e32 v221, s64, v192                              // 000000003F9C: 69BB8040
	s_waitcnt vmcnt(6)                                         // 000000003FA0: BF8C0F76
	v_mul_i32_i24_dpp v192, v189, v235 quad_perm:[0,0,0,0] row_mask:0xf bank_mask:0xf// 000000003FA4: 0D81D6FA FF0000BD
	v_mul_i32_i24_dpp v193, v189, v235 quad_perm:[1,1,1,1] row_mask:0xf bank_mask:0xf// 000000003FAC: 0D83D6FA FF0055BD
	v_mul_i32_i24_dpp v194, v189, v235 quad_perm:[2,2,2,2] row_mask:0xf bank_mask:0xf// 000000003FB4: 0D85D6FA FF00AABD
	v_mul_i32_i24_dpp v195, v189, v235 quad_perm:[3,3,3,3] row_mask:0xf bank_mask:0xf// 000000003FBC: 0D87D6FA FF00FFBD
	v_add_u32_e32 v222, v221, v192                             // 000000003FC4: 69BD81DD
	v_add_u32_e32 v223, v221, v193                             // 000000003FC8: 69BF83DD
	v_add_u32_e32 v224, v221, v194                             // 000000003FCC: 69C185DD
	v_add_u32_e32 v225, v221, v195                             // 000000003FD0: 69C387DD
	s_add_u32 m0, s94, 0                                       // 000000003FD4: 807C805E
	buffer_load_dwordx4 v222, s[12:15], 0 offen lds            // 000000003FD8: E05D1000 800300DE
	s_add_u32 m0, s94, 0x410                                   // 000000003FE0: 807CFF5E 00000410
	buffer_load_dwordx4 v223, s[12:15], 0 offen lds            // 000000003FE8: E05D1000 800300DF
	s_add_u32 m0, s94, 0x820                                   // 000000003FF0: 807CFF5E 00000820
	buffer_load_dwordx4 v224, s[12:15], 0 offen lds            // 000000003FF8: E05D1000 800300E0
	s_add_u32 m0, s94, 0xc30                                   // 000000004000: 807CFF5E 00000C30
	buffer_load_dwordx4 v225, s[12:15], 0 offen lds            // 000000004008: E05D1000 800300E1
	s_waitcnt vmcnt(4)                                         // 000000004010: BF8C0F74
	s_barrier                                                  // 000000004014: BF8A0000
	ds_read_b128 v[4:7], v213                                  // 000000004018: D9FE0000 040000D5
	ds_read_b128 v[8:11], v213 offset:32                       // 000000004020: D9FE0020 080000D5
	ds_read_b128 v[12:15], v213 offset:4160                    // 000000004028: D9FE1040 0C0000D5
	ds_read_b128 v[16:19], v213 offset:4192                    // 000000004030: D9FE1060 100000D5
	ds_read_b128 v[20:23], v213 offset:8320                    // 000000004038: D9FE2080 140000D5
	ds_read_b128 v[24:27], v213 offset:8352                    // 000000004040: D9FE20A0 180000D5
	s_barrier                                                  // 000000004048: BF8A0000
	s_waitcnt vmcnt(0)                                         // 00000000404C: BF8C0F70
	s_barrier                                                  // 000000004050: BF8A0000
	s_barrier                                                  // 000000004054: BF8A0000
	;; [unrolled: 1-line block ×3, first 2 shown]
	s_barrier                                                  // 00000000405C: BF8A0000
	s_setprio 1                                                // 000000004060: BF8F0001
	ds_read_b128 v[28:31], v226                                // 000000004064: D9FE0000 1C0000E2
	ds_read_b128 v[32:35], v226 offset:32                      // 00000000406C: D9FE0020 200000E2
	ds_read_b128 v[36:39], v226 offset:4160                    // 000000004074: D9FE1040 240000E2
	ds_read_b128 v[40:43], v226 offset:4192                    // 00000000407C: D9FE1060 280000E2
	ds_read_b128 v[44:47], v226 offset:8320                    // 000000004084: D9FE2080 2C0000E2
	ds_read_b128 v[48:51], v226 offset:8352                    // 00000000408C: D9FE20A0 300000E2

0000000000004094 <label_0725>:
	s_cmp_lt_i32 s72, s73                                      // 000000004094: BF044948
	s_cbranch_scc0 label_131E                                  // 000000004098: BF840BF7
	s_waitcnt lgkmcnt(4)                                       // 00000000409C: BF8CC47F
	v_mfma_f32_32x32x64_f8f6f4 v[60:75], v[28:35], v[4:11], 0  // 0000000040A0: D3AE003C 0202091C
	v_mul_i32_i24_dpp v192, v190, v235 quad_perm:[0,0,0,0] row_mask:0xf bank_mask:0xf// 0000000040A8: 0D81D6FA FF0000BE
	v_mul_i32_i24_dpp v193, v190, v235 quad_perm:[1,1,1,1] row_mask:0xf bank_mask:0xf// 0000000040B0: 0D83D6FA FF0055BE
	v_mul_i32_i24_dpp v194, v190, v235 quad_perm:[2,2,2,2] row_mask:0xf bank_mask:0xf// 0000000040B8: 0D85D6FA FF00AABE
	v_mul_i32_i24_dpp v195, v190, v235 quad_perm:[3,3,3,3] row_mask:0xf bank_mask:0xf// 0000000040C0: 0D87D6FA FF00FFBE
	v_add_u32_e32 v222, v221, v192                             // 0000000040C8: 69BD81DD
	v_add_u32_e32 v223, v221, v193                             // 0000000040CC: 69BF83DD
	v_add_u32_e32 v224, v221, v194                             // 0000000040D0: 69C185DD
	v_add_u32_e32 v225, v221, v195                             // 0000000040D4: 69C387DD
	ds_read_b128 v[52:55], v226 offset:512                     // 0000000040D8: D9FE0200 340000E2
	ds_read_b128 v[56:59], v226 offset:544                     // 0000000040E0: D9FE0220 380000E2
	s_waitcnt lgkmcnt(4)                                       // 0000000040E8: BF8CC47F
	v_mfma_f32_32x32x64_f8f6f4 v[60:75], v[36:43], v[12:19], v[60:75]// 0000000040EC: D3AE003C 04F21924
	s_add_u32 m0, s94, 0x4100                                  // 0000000040F4: 807CFF5E 00004100
	buffer_load_dwordx4 v222, s[12:15], 0 offen lds            // 0000000040FC: E05D1000 800300DE
	ds_read_b128 v[28:31], v226 offset:4672                    // 000000004104: D9FE1240 1C0000E2
	ds_read_b128 v[32:35], v226 offset:4704                    // 00000000410C: D9FE1260 200000E2
	s_waitcnt lgkmcnt(4)                                       // 000000004114: BF8CC47F
	v_mfma_f32_32x32x64_f8f6f4 v[60:75], v[44:51], v[20:27], v[60:75]// 000000004118: D3AE003C 04F2292C
	s_add_u32 m0, s94, 0x4510                                  // 000000004120: 807CFF5E 00004510
	buffer_load_dwordx4 v223, s[12:15], 0 offen lds            // 000000004128: E05D1000 800300DF
	ds_read_b128 v[36:39], v226 offset:8832                    // 000000004130: D9FE2280 240000E2
	ds_read_b128 v[40:43], v226 offset:8864                    // 000000004138: D9FE22A0 280000E2
	s_waitcnt lgkmcnt(4)                                       // 000000004140: BF8CC47F
	v_mfma_f32_32x32x64_f8f6f4 v[76:91], v[52:59], v[4:11], 0  // 000000004144: D3AE004C 02020934
	s_add_u32 m0, s94, 0x4920                                  // 00000000414C: 807CFF5E 00004920
	buffer_load_dwordx4 v224, s[12:15], 0 offen lds            // 000000004154: E05D1000 800300E0
	ds_read_b128 v[44:47], v226 offset:12480                   // 00000000415C: D9FE30C0 2C0000E2
	ds_read_b128 v[48:51], v226 offset:12512                   // 000000004164: D9FE30E0 300000E2
	s_waitcnt lgkmcnt(4)                                       // 00000000416C: BF8CC47F
	v_mfma_f32_32x32x64_f8f6f4 v[76:91], v[28:35], v[12:19], v[76:91]// 000000004170: D3AE004C 0532191C
	s_add_u32 m0, s94, 0x4d30                                  // 000000004178: 807CFF5E 00004D30
	buffer_load_dwordx4 v225, s[12:15], 0 offen lds            // 000000004180: E05D1000 800300E1
	ds_read_b128 v[52:55], v226 offset:16640                   // 000000004188: D9FE4100 340000E2
	ds_read_b128 v[56:59], v226 offset:16672                   // 000000004190: D9FE4120 380000E2
	s_waitcnt lgkmcnt(4)                                       // 000000004198: BF8CC47F
	v_mfma_f32_32x32x64_f8f6f4 v[76:91], v[36:43], v[20:27], v[76:91]// 00000000419C: D3AE004C 05322924
	buffer_load_dword v189, v217, s[44:47], 0 offen            // 0000000041A4: E0501000 800BBDD9
	ds_read_b128 v[28:31], v226 offset:20800                   // 0000000041AC: D9FE5140 1C0000E2
	ds_read_b128 v[32:35], v226 offset:20832                   // 0000000041B4: D9FE5160 200000E2
	s_waitcnt lgkmcnt(4)                                       // 0000000041BC: BF8CC47F
	v_mfma_f32_32x32x64_f8f6f4 v[92:107], v[44:51], v[4:11], 0 // 0000000041C0: D3AE005C 0202092C
	buffer_load_dword v190, v217, s[44:47], 0 offen offset:512 // 0000000041C8: E0501200 800BBED9
	v_add_u32_e32 v217, 0x400, v217                            // 0000000041D0: 69B3B2FF 00000400
	ds_read_b128 v[36:39], v226 offset:12992                   // 0000000041D8: D9FE32C0 240000E2
	ds_read_b128 v[40:43], v226 offset:13024                   // 0000000041E0: D9FE32E0 280000E2
	s_waitcnt lgkmcnt(4)                                       // 0000000041E8: BF8CC47F
	v_mfma_f32_32x32x64_f8f6f4 v[92:107], v[52:59], v[12:19], v[92:107]// 0000000041EC: D3AE005C 05721934
	ds_read_b128 v[44:47], v226 offset:17152                   // 0000000041F4: D9FE4300 2C0000E2
	ds_read_b128 v[48:51], v226 offset:17184                   // 0000000041FC: D9FE4320 300000E2
	s_waitcnt lgkmcnt(4)                                       // 000000004204: BF8CC47F
	v_mfma_f32_32x32x64_f8f6f4 v[92:107], v[28:35], v[20:27], v[92:107]// 000000004208: D3AE005C 0572291C
	ds_read_b128 v[52:55], v226 offset:21312                   // 000000004210: D9FE5340 340000E2
	ds_read_b128 v[56:59], v226 offset:21344                   // 000000004218: D9FE5360 380000E2
	s_waitcnt lgkmcnt(4)                                       // 000000004220: BF8CC47F
	v_mfma_f32_32x32x64_f8f6f4 v[108:123], v[36:43], v[4:11], 0// 000000004224: D3AE006C 02020924
	ds_read_b64_tr_b8 v[28:29], v227                           // 00000000422C: D9C40000 1C0000E3
	ds_read_b64_tr_b8 v[30:31], v227 offset:256                // 000000004234: D9C40100 1E0000E3
	ds_read_b64_tr_b8 v[32:33], v227 offset:512                // 00000000423C: D9C40200 200000E3
	ds_read_b64_tr_b8 v[34:35], v227 offset:768                // 000000004244: D9C40300 220000E3
	s_waitcnt lgkmcnt(6)                                       // 00000000424C: BF8CC67F
	v_mfma_f32_32x32x64_f8f6f4 v[108:123], v[44:51], v[12:19], v[108:123]// 000000004250: D3AE006C 05B2192C
	ds_read_b64_tr_b8 v[36:37], v227 offset:8320               // 000000004258: D9C42080 240000E3
	ds_read_b64_tr_b8 v[38:39], v227 offset:8576               // 000000004260: D9C42180 260000E3
	ds_read_b64_tr_b8 v[40:41], v227 offset:8832               // 000000004268: D9C42280 280000E3
	ds_read_b64_tr_b8 v[42:43], v227 offset:9088               // 000000004270: D9C42380 2A0000E3
	s_waitcnt lgkmcnt(8)                                       // 000000004278: BF8CC87F
	v_mfma_f32_32x32x64_f8f6f4 v[108:123], v[52:59], v[20:27], v[108:123]// 00000000427C: D3AE006C 05B22934
	ds_read_b64_tr_b8 v[44:45], v227 offset:32                 // 000000004284: D9C40020 2C0000E3
	ds_read_b64_tr_b8 v[46:47], v227 offset:288                // 00000000428C: D9C40120 2E0000E3
	ds_read_b64_tr_b8 v[48:49], v227 offset:544                // 000000004294: D9C40220 300000E3
	ds_read_b64_tr_b8 v[50:51], v227 offset:800                // 00000000429C: D9C40320 320000E3
	s_nop 5                                                    // 0000000042A4: BF800005
	s_barrier                                                  // 0000000042A8: BF8A0000
	s_setprio 0                                                // 0000000042AC: BF8F0000
	s_barrier                                                  // 0000000042B0: BF8A0000
	v_mov_b32_e32 v201, v200                                   // 0000000042B4: 7F9203C8
	v_max3_f32 v201, v60, v61, v201                            // 0000000042B8: D1D300C9 07267B3C
	v_max3_f32 v201, v62, v63, v201                            // 0000000042C0: D1D300C9 07267F3E
	v_max3_f32 v201, v64, v65, v201                            // 0000000042C8: D1D300C9 07268340
	v_max3_f32 v201, v66, v67, v201                            // 0000000042D0: D1D300C9 07268742
	v_max3_f32 v201, v68, v69, v201                            // 0000000042D8: D1D300C9 07268B44
	v_max3_f32 v201, v70, v71, v201                            // 0000000042E0: D1D300C9 07268F46
	v_max3_f32 v201, v72, v73, v201                            // 0000000042E8: D1D300C9 07269348
	v_max3_f32 v201, v74, v75, v201                            // 0000000042F0: D1D300C9 0726974A
	v_max3_f32 v201, v76, v77, v201                            // 0000000042F8: D1D300C9 07269B4C
	v_max3_f32 v201, v78, v79, v201                            // 000000004300: D1D300C9 07269F4E
	v_max3_f32 v201, v80, v81, v201                            // 000000004308: D1D300C9 0726A350
	v_max3_f32 v201, v82, v83, v201                            // 000000004310: D1D300C9 0726A752
	v_max3_f32 v201, v84, v85, v201                            // 000000004318: D1D300C9 0726AB54
	v_max3_f32 v201, v86, v87, v201                            // 000000004320: D1D300C9 0726AF56
	v_max3_f32 v201, v88, v89, v201                            // 000000004328: D1D300C9 0726B358
	v_max3_f32 v201, v90, v91, v201                            // 000000004330: D1D300C9 0726B75A
	v_max3_f32 v201, v92, v93, v201                            // 000000004338: D1D300C9 0726BB5C
	v_max3_f32 v201, v94, v95, v201                            // 000000004340: D1D300C9 0726BF5E
	v_max3_f32 v201, v96, v97, v201                            // 000000004348: D1D300C9 0726C360
	v_max3_f32 v201, v98, v99, v201                            // 000000004350: D1D300C9 0726C762
	v_max3_f32 v201, v100, v101, v201                          // 000000004358: D1D300C9 0726CB64
	v_max3_f32 v201, v102, v103, v201                          // 000000004360: D1D300C9 0726CF66
	v_max3_f32 v201, v104, v105, v201                          // 000000004368: D1D300C9 0726D368
	v_max3_f32 v201, v106, v107, v201                          // 000000004370: D1D300C9 0726D76A
	v_max3_f32 v201, v108, v109, v201                          // 000000004378: D1D300C9 0726DB6C
	v_max3_f32 v201, v110, v111, v201                          // 000000004380: D1D300C9 0726DF6E
	v_max3_f32 v201, v112, v113, v201                          // 000000004388: D1D300C9 0726E370
	v_max3_f32 v201, v114, v115, v201                          // 000000004390: D1D300C9 0726E772
	v_max3_f32 v201, v116, v117, v201                          // 000000004398: D1D300C9 0726EB74
	v_max3_f32 v201, v118, v119, v201                          // 0000000043A0: D1D300C9 0726EF76
	v_max3_f32 v201, v120, v121, v201                          // 0000000043A8: D1D300C9 0726F378
	v_max3_f32 v201, v122, v123, v201                          // 0000000043B0: D1D300C9 0726F77A
	v_mov_b32_e32 v192, v201                                   // 0000000043B8: 7F8003C9
	s_nop 1                                                    // 0000000043BC: BF800001
	s_nop 0                                                    // 0000000043C0: BF800000
	v_permlane32_swap_b32_e32 v192, v201                       // 0000000043C4: 7F80B5C9
	v_max_f32_e32 v201, v201, v192                             // 0000000043C8: 179381C9
	v_mul_f32_e64 v192, -s54, v201                             // 0000000043CC: D10500C0 20039236
	v_mov_b32_e32 v193, v192                                   // 0000000043D4: 7F8203C0
	v_pk_fma_f32 v[60:61], v[60:61], s[54:55], v[192:193]      // 0000000043D8: D3B0403C 1F006D3C
	v_pk_fma_f32 v[62:63], v[62:63], s[54:55], v[192:193]      // 0000000043E0: D3B0403E 1F006D3E
	v_pk_fma_f32 v[64:65], v[64:65], s[54:55], v[192:193]      // 0000000043E8: D3B04040 1F006D40
	v_pk_fma_f32 v[66:67], v[66:67], s[54:55], v[192:193]      // 0000000043F0: D3B04042 1F006D42
	v_pk_fma_f32 v[68:69], v[68:69], s[54:55], v[192:193]      // 0000000043F8: D3B04044 1F006D44
	v_pk_fma_f32 v[70:71], v[70:71], s[54:55], v[192:193]      // 000000004400: D3B04046 1F006D46
	v_pk_fma_f32 v[72:73], v[72:73], s[54:55], v[192:193]      // 000000004408: D3B04048 1F006D48
	v_pk_fma_f32 v[74:75], v[74:75], s[54:55], v[192:193]      // 000000004410: D3B0404A 1F006D4A
	v_pk_fma_f32 v[76:77], v[76:77], s[54:55], v[192:193]      // 000000004418: D3B0404C 1F006D4C
	v_pk_fma_f32 v[78:79], v[78:79], s[54:55], v[192:193]      // 000000004420: D3B0404E 1F006D4E
	v_pk_fma_f32 v[80:81], v[80:81], s[54:55], v[192:193]      // 000000004428: D3B04050 1F006D50
	v_pk_fma_f32 v[82:83], v[82:83], s[54:55], v[192:193]      // 000000004430: D3B04052 1F006D52
	v_pk_fma_f32 v[84:85], v[84:85], s[54:55], v[192:193]      // 000000004438: D3B04054 1F006D54
	v_pk_fma_f32 v[86:87], v[86:87], s[54:55], v[192:193]      // 000000004440: D3B04056 1F006D56
	v_pk_fma_f32 v[88:89], v[88:89], s[54:55], v[192:193]      // 000000004448: D3B04058 1F006D58
	v_pk_fma_f32 v[90:91], v[90:91], s[54:55], v[192:193]      // 000000004450: D3B0405A 1F006D5A
	v_pk_fma_f32 v[92:93], v[92:93], s[54:55], v[192:193]      // 000000004458: D3B0405C 1F006D5C
	v_pk_fma_f32 v[94:95], v[94:95], s[54:55], v[192:193]      // 000000004460: D3B0405E 1F006D5E
	v_pk_fma_f32 v[96:97], v[96:97], s[54:55], v[192:193]      // 000000004468: D3B04060 1F006D60
	v_pk_fma_f32 v[98:99], v[98:99], s[54:55], v[192:193]      // 000000004470: D3B04062 1F006D62
	v_pk_fma_f32 v[100:101], v[100:101], s[54:55], v[192:193]  // 000000004478: D3B04064 1F006D64
	v_pk_fma_f32 v[102:103], v[102:103], s[54:55], v[192:193]  // 000000004480: D3B04066 1F006D66
	v_pk_fma_f32 v[104:105], v[104:105], s[54:55], v[192:193]  // 000000004488: D3B04068 1F006D68
	v_pk_fma_f32 v[106:107], v[106:107], s[54:55], v[192:193]  // 000000004490: D3B0406A 1F006D6A
	v_pk_fma_f32 v[108:109], v[108:109], s[54:55], v[192:193]  // 000000004498: D3B0406C 1F006D6C
	v_pk_fma_f32 v[110:111], v[110:111], s[54:55], v[192:193]  // 0000000044A0: D3B0406E 1F006D6E
	v_pk_fma_f32 v[112:113], v[112:113], s[54:55], v[192:193]  // 0000000044A8: D3B04070 1F006D70
	v_pk_fma_f32 v[114:115], v[114:115], s[54:55], v[192:193]  // 0000000044B0: D3B04072 1F006D72
	v_pk_fma_f32 v[116:117], v[116:117], s[54:55], v[192:193]  // 0000000044B8: D3B04074 1F006D74
	v_pk_fma_f32 v[118:119], v[118:119], s[54:55], v[192:193]  // 0000000044C0: D3B04076 1F006D76
	v_pk_fma_f32 v[120:121], v[120:121], s[54:55], v[192:193]  // 0000000044C8: D3B04078 1F006D78
	v_pk_fma_f32 v[122:123], v[122:123], s[54:55], v[192:193]  // 0000000044D0: D3B0407A 1F006D7A
	s_barrier                                                  // 0000000044D8: BF8A0000
	v_exp_f32_e32 v60, v60                                     // 0000000044DC: 7E78413C
	v_exp_f32_e32 v61, v61                                     // 0000000044E0: 7E7A413D
	v_exp_f32_e32 v62, v62                                     // 0000000044E4: 7E7C413E
	v_exp_f32_e32 v63, v63                                     // 0000000044E8: 7E7E413F
	v_exp_f32_e32 v64, v64                                     // 0000000044EC: 7E804140
	v_exp_f32_e32 v65, v65                                     // 0000000044F0: 7E824141
	v_exp_f32_e32 v66, v66                                     // 0000000044F4: 7E844142
	v_exp_f32_e32 v67, v67                                     // 0000000044F8: 7E864143
	v_exp_f32_e32 v68, v68                                     // 0000000044FC: 7E884144
	v_exp_f32_e32 v69, v69                                     // 000000004500: 7E8A4145
	v_exp_f32_e32 v70, v70                                     // 000000004504: 7E8C4146
	v_exp_f32_e32 v71, v71                                     // 000000004508: 7E8E4147
	v_exp_f32_e32 v72, v72                                     // 00000000450C: 7E904148
	v_exp_f32_e32 v73, v73                                     // 000000004510: 7E924149
	v_exp_f32_e32 v74, v74                                     // 000000004514: 7E94414A
	v_exp_f32_e32 v75, v75                                     // 000000004518: 7E96414B
	v_exp_f32_e32 v76, v76                                     // 00000000451C: 7E98414C
	v_exp_f32_e32 v77, v77                                     // 000000004520: 7E9A414D
	v_exp_f32_e32 v78, v78                                     // 000000004524: 7E9C414E
	v_exp_f32_e32 v79, v79                                     // 000000004528: 7E9E414F
	v_exp_f32_e32 v80, v80                                     // 00000000452C: 7EA04150
	v_exp_f32_e32 v81, v81                                     // 000000004530: 7EA24151
	v_exp_f32_e32 v82, v82                                     // 000000004534: 7EA44152
	v_exp_f32_e32 v83, v83                                     // 000000004538: 7EA64153
	v_exp_f32_e32 v84, v84                                     // 00000000453C: 7EA84154
	v_exp_f32_e32 v85, v85                                     // 000000004540: 7EAA4155
	v_exp_f32_e32 v86, v86                                     // 000000004544: 7EAC4156
	v_exp_f32_e32 v87, v87                                     // 000000004548: 7EAE4157
	v_exp_f32_e32 v88, v88                                     // 00000000454C: 7EB04158
	v_exp_f32_e32 v89, v89                                     // 000000004550: 7EB24159
	v_exp_f32_e32 v90, v90                                     // 000000004554: 7EB4415A
	v_exp_f32_e32 v91, v91                                     // 000000004558: 7EB6415B
	v_exp_f32_e32 v92, v92                                     // 00000000455C: 7EB8415C
	v_exp_f32_e32 v93, v93                                     // 000000004560: 7EBA415D
	v_exp_f32_e32 v94, v94                                     // 000000004564: 7EBC415E
	v_exp_f32_e32 v95, v95                                     // 000000004568: 7EBE415F
	v_exp_f32_e32 v96, v96                                     // 00000000456C: 7EC04160
	v_exp_f32_e32 v97, v97                                     // 000000004570: 7EC24161
	v_exp_f32_e32 v98, v98                                     // 000000004574: 7EC44162
	v_exp_f32_e32 v99, v99                                     // 000000004578: 7EC64163
	v_exp_f32_e32 v100, v100                                   // 00000000457C: 7EC84164
	v_exp_f32_e32 v101, v101                                   // 000000004580: 7ECA4165
	v_exp_f32_e32 v102, v102                                   // 000000004584: 7ECC4166
	v_exp_f32_e32 v103, v103                                   // 000000004588: 7ECE4167
	v_exp_f32_e32 v104, v104                                   // 00000000458C: 7ED04168
	v_exp_f32_e32 v105, v105                                   // 000000004590: 7ED24169
	v_exp_f32_e32 v106, v106                                   // 000000004594: 7ED4416A
	v_exp_f32_e32 v107, v107                                   // 000000004598: 7ED6416B
	v_exp_f32_e32 v108, v108                                   // 00000000459C: 7ED8416C
	v_exp_f32_e32 v109, v109                                   // 0000000045A0: 7EDA416D
	v_exp_f32_e32 v110, v110                                   // 0000000045A4: 7EDC416E
	v_exp_f32_e32 v111, v111                                   // 0000000045A8: 7EDE416F
	v_exp_f32_e32 v112, v112                                   // 0000000045AC: 7EE04170
	v_exp_f32_e32 v113, v113                                   // 0000000045B0: 7EE24171
	v_exp_f32_e32 v114, v114                                   // 0000000045B4: 7EE44172
	v_exp_f32_e32 v115, v115                                   // 0000000045B8: 7EE64173
	v_exp_f32_e32 v116, v116                                   // 0000000045BC: 7EE84174
	v_exp_f32_e32 v117, v117                                   // 0000000045C0: 7EEA4175
	v_exp_f32_e32 v118, v118                                   // 0000000045C4: 7EEC4176
	v_exp_f32_e32 v119, v119                                   // 0000000045C8: 7EEE4177
	v_exp_f32_e32 v120, v120                                   // 0000000045CC: 7EF04178
	v_exp_f32_e32 v121, v121                                   // 0000000045D0: 7EF24179
	v_exp_f32_e32 v122, v122                                   // 0000000045D4: 7EF4417A
	v_exp_f32_e32 v123, v123                                   // 0000000045D8: 7EF6417B
	v_sub_f32_e32 v196, v200, v201                             // 0000000045DC: 058993C8
	v_cmp_eq_u32_e64 s[64:65], v205, v200                      // 0000000045E0: D0CA0040 000391CD
	s_nop 0                                                    // 0000000045E8: BF800000
	v_cndmask_b32_e64 v196, v196, 0, s[64:65]                  // 0000000045EC: D10000C4 010101C4
	v_mov_b32_e32 v200, v201                                   // 0000000045F4: 7F9003C9
	v_mul_f32_e32 v196, s54, v196                              // 0000000045F8: 0B898836
	v_exp_f32_e32 v196, v196                                   // 0000000045FC: 7F8841C4
	s_nop 0                                                    // 000000004600: BF800000
	v_mul_f32_e32 v198, v196, v198                             // 000000004604: 0B8D8DC4
	v_add_f32_e32 v198, v60, v198                              // 000000004608: 038D8D3C
	v_add_f32_e32 v198, v61, v198                              // 00000000460C: 038D8D3D
	v_add_f32_e32 v198, v62, v198                              // 000000004610: 038D8D3E
	v_add_f32_e32 v198, v63, v198                              // 000000004614: 038D8D3F
	v_add_f32_e32 v198, v64, v198                              // 000000004618: 038D8D40
	v_add_f32_e32 v198, v65, v198                              // 00000000461C: 038D8D41
	v_add_f32_e32 v198, v66, v198                              // 000000004620: 038D8D42
	v_add_f32_e32 v198, v67, v198                              // 000000004624: 038D8D43
	v_add_f32_e32 v198, v68, v198                              // 000000004628: 038D8D44
	v_add_f32_e32 v198, v69, v198                              // 00000000462C: 038D8D45
	v_add_f32_e32 v198, v70, v198                              // 000000004630: 038D8D46
	v_add_f32_e32 v198, v71, v198                              // 000000004634: 038D8D47
	v_add_f32_e32 v198, v72, v198                              // 000000004638: 038D8D48
	v_add_f32_e32 v198, v73, v198                              // 00000000463C: 038D8D49
	v_add_f32_e32 v198, v74, v198                              // 000000004640: 038D8D4A
	v_add_f32_e32 v198, v75, v198                              // 000000004644: 038D8D4B
	v_add_f32_e32 v198, v76, v198                              // 000000004648: 038D8D4C
	v_add_f32_e32 v198, v77, v198                              // 00000000464C: 038D8D4D
	v_add_f32_e32 v198, v78, v198                              // 000000004650: 038D8D4E
	v_add_f32_e32 v198, v79, v198                              // 000000004654: 038D8D4F
	v_add_f32_e32 v198, v80, v198                              // 000000004658: 038D8D50
	v_add_f32_e32 v198, v81, v198                              // 00000000465C: 038D8D51
	v_add_f32_e32 v198, v82, v198                              // 000000004660: 038D8D52
	v_add_f32_e32 v198, v83, v198                              // 000000004664: 038D8D53
	v_add_f32_e32 v198, v84, v198                              // 000000004668: 038D8D54
	v_add_f32_e32 v198, v85, v198                              // 00000000466C: 038D8D55
	v_add_f32_e32 v198, v86, v198                              // 000000004670: 038D8D56
	v_add_f32_e32 v198, v87, v198                              // 000000004674: 038D8D57
	v_add_f32_e32 v198, v88, v198                              // 000000004678: 038D8D58
	v_add_f32_e32 v198, v89, v198                              // 00000000467C: 038D8D59
	v_add_f32_e32 v198, v90, v198                              // 000000004680: 038D8D5A
	v_add_f32_e32 v198, v91, v198                              // 000000004684: 038D8D5B
	v_add_f32_e32 v198, v92, v198                              // 000000004688: 038D8D5C
	v_add_f32_e32 v198, v93, v198                              // 00000000468C: 038D8D5D
	v_add_f32_e32 v198, v94, v198                              // 000000004690: 038D8D5E
	v_add_f32_e32 v198, v95, v198                              // 000000004694: 038D8D5F
	v_add_f32_e32 v198, v96, v198                              // 000000004698: 038D8D60
	v_add_f32_e32 v198, v97, v198                              // 00000000469C: 038D8D61
	v_add_f32_e32 v198, v98, v198                              // 0000000046A0: 038D8D62
	v_add_f32_e32 v198, v99, v198                              // 0000000046A4: 038D8D63
	v_add_f32_e32 v198, v100, v198                             // 0000000046A8: 038D8D64
	v_add_f32_e32 v198, v101, v198                             // 0000000046AC: 038D8D65
	v_add_f32_e32 v198, v102, v198                             // 0000000046B0: 038D8D66
	v_add_f32_e32 v198, v103, v198                             // 0000000046B4: 038D8D67
	v_add_f32_e32 v198, v104, v198                             // 0000000046B8: 038D8D68
	v_add_f32_e32 v198, v105, v198                             // 0000000046BC: 038D8D69
	v_add_f32_e32 v198, v106, v198                             // 0000000046C0: 038D8D6A
	v_add_f32_e32 v198, v107, v198                             // 0000000046C4: 038D8D6B
	v_add_f32_e32 v198, v108, v198                             // 0000000046C8: 038D8D6C
	v_add_f32_e32 v198, v109, v198                             // 0000000046CC: 038D8D6D
	v_add_f32_e32 v198, v110, v198                             // 0000000046D0: 038D8D6E
	v_add_f32_e32 v198, v111, v198                             // 0000000046D4: 038D8D6F
	v_add_f32_e32 v198, v112, v198                             // 0000000046D8: 038D8D70
	v_add_f32_e32 v198, v113, v198                             // 0000000046DC: 038D8D71
	v_add_f32_e32 v198, v114, v198                             // 0000000046E0: 038D8D72
	v_add_f32_e32 v198, v115, v198                             // 0000000046E4: 038D8D73
	v_add_f32_e32 v198, v116, v198                             // 0000000046E8: 038D8D74
	v_add_f32_e32 v198, v117, v198                             // 0000000046EC: 038D8D75
	v_add_f32_e32 v198, v118, v198                             // 0000000046F0: 038D8D76
	v_add_f32_e32 v198, v119, v198                             // 0000000046F4: 038D8D77
	v_add_f32_e32 v198, v120, v198                             // 0000000046F8: 038D8D78
	v_add_f32_e32 v198, v121, v198                             // 0000000046FC: 038D8D79
	v_add_f32_e32 v198, v122, v198                             // 000000004700: 038D8D7A
	v_add_f32_e32 v198, v123, v198                             // 000000004704: 038D8D7B
	v_mul_f32_e32 v124, v196, v124                             // 000000004708: 0AF8F9C4
	v_mul_f32_e32 v125, v196, v125                             // 00000000470C: 0AFAFBC4
	v_mul_f32_e32 v126, v196, v126                             // 000000004710: 0AFCFDC4
	v_mul_f32_e32 v127, v196, v127                             // 000000004714: 0AFEFFC4
	v_mul_f32_e32 v128, v196, v128                             // 000000004718: 0B0101C4
	v_mul_f32_e32 v129, v196, v129                             // 00000000471C: 0B0303C4
	v_mul_f32_e32 v130, v196, v130                             // 000000004720: 0B0505C4
	v_mul_f32_e32 v131, v196, v131                             // 000000004724: 0B0707C4
	v_mul_f32_e32 v132, v196, v132                             // 000000004728: 0B0909C4
	v_mul_f32_e32 v133, v196, v133                             // 00000000472C: 0B0B0BC4
	v_mul_f32_e32 v134, v196, v134                             // 000000004730: 0B0D0DC4
	v_mul_f32_e32 v135, v196, v135                             // 000000004734: 0B0F0FC4
	v_mul_f32_e32 v136, v196, v136                             // 000000004738: 0B1111C4
	v_mul_f32_e32 v137, v196, v137                             // 00000000473C: 0B1313C4
	v_mul_f32_e32 v138, v196, v138                             // 000000004740: 0B1515C4
	v_mul_f32_e32 v139, v196, v139                             // 000000004744: 0B1717C4
	v_mul_f32_e32 v140, v196, v140                             // 000000004748: 0B1919C4
	v_mul_f32_e32 v141, v196, v141                             // 00000000474C: 0B1B1BC4
	v_mul_f32_e32 v142, v196, v142                             // 000000004750: 0B1D1DC4
	v_mul_f32_e32 v143, v196, v143                             // 000000004754: 0B1F1FC4
	v_mul_f32_e32 v144, v196, v144                             // 000000004758: 0B2121C4
	v_mul_f32_e32 v145, v196, v145                             // 00000000475C: 0B2323C4
	v_mul_f32_e32 v146, v196, v146                             // 000000004760: 0B2525C4
	v_mul_f32_e32 v147, v196, v147                             // 000000004764: 0B2727C4
	v_mul_f32_e32 v148, v196, v148                             // 000000004768: 0B2929C4
	s_waitcnt vmcnt(0)                                         // 00000000476C: BF8C0F70
	s_barrier                                                  // 000000004770: BF8A0000
	v_mul_f32_e32 v149, v196, v149                             // 000000004774: 0B2B2BC4
	v_mul_f32_e32 v150, v196, v150                             // 000000004778: 0B2D2DC4
	v_mul_f32_e32 v151, v196, v151                             // 00000000477C: 0B2F2FC4
	v_mul_f32_e32 v152, v196, v152                             // 000000004780: 0B3131C4
	v_mul_f32_e32 v153, v196, v153                             // 000000004784: 0B3333C4
	v_mul_f32_e32 v154, v196, v154                             // 000000004788: 0B3535C4
	v_mul_f32_e32 v155, v196, v155                             // 00000000478C: 0B3737C4
	v_mul_f32_e32 v156, v196, v156                             // 000000004790: 0B3939C4
	v_mul_f32_e32 v157, v196, v157                             // 000000004794: 0B3B3BC4
	v_mul_f32_e32 v158, v196, v158                             // 000000004798: 0B3D3DC4
	v_mul_f32_e32 v159, v196, v159                             // 00000000479C: 0B3F3FC4
	v_mul_f32_e32 v160, v196, v160                             // 0000000047A0: 0B4141C4
	v_mul_f32_e32 v161, v196, v161                             // 0000000047A4: 0B4343C4
	v_mul_f32_e32 v162, v196, v162                             // 0000000047A8: 0B4545C4
	v_mul_f32_e32 v163, v196, v163                             // 0000000047AC: 0B4747C4
	v_mul_f32_e32 v164, v196, v164                             // 0000000047B0: 0B4949C4
	v_mul_f32_e32 v165, v196, v165                             // 0000000047B4: 0B4B4BC4
	v_mul_f32_e32 v166, v196, v166                             // 0000000047B8: 0B4D4DC4
	v_mul_f32_e32 v167, v196, v167                             // 0000000047BC: 0B4F4FC4
	v_mul_f32_e32 v168, v196, v168                             // 0000000047C0: 0B5151C4
	v_mul_f32_e32 v169, v196, v169                             // 0000000047C4: 0B5353C4
	v_mul_f32_e32 v170, v196, v170                             // 0000000047C8: 0B5555C4
	v_mul_f32_e32 v171, v196, v171                             // 0000000047CC: 0B5757C4
	v_mul_f32_e32 v172, v196, v172                             // 0000000047D0: 0B5959C4
	v_mul_f32_e32 v173, v196, v173                             // 0000000047D4: 0B5B5BC4
	v_mul_f32_e32 v174, v196, v174                             // 0000000047D8: 0B5D5DC4
	v_mul_f32_e32 v175, v196, v175                             // 0000000047DC: 0B5F5FC4
	v_mul_f32_e32 v176, v196, v176                             // 0000000047E0: 0B6161C4
	v_mul_f32_e32 v177, v196, v177                             // 0000000047E4: 0B6363C4
	v_mul_f32_e32 v178, v196, v178                             // 0000000047E8: 0B6565C4
	v_mul_f32_e32 v179, v196, v179                             // 0000000047EC: 0B6767C4
	v_mul_f32_e32 v180, v196, v180                             // 0000000047F0: 0B6969C4
	v_mul_f32_e32 v181, v196, v181                             // 0000000047F4: 0B6B6BC4
	v_mul_f32_e32 v182, v196, v182                             // 0000000047F8: 0B6D6DC4
	v_mul_f32_e32 v183, v196, v183                             // 0000000047FC: 0B6F6FC4
	v_mul_f32_e32 v184, v196, v184                             // 000000004800: 0B7171C4
	v_mul_f32_e32 v185, v196, v185                             // 000000004804: 0B7373C4
	v_mul_f32_e32 v186, v196, v186                             // 000000004808: 0B7575C4
	v_mul_f32_e32 v187, v196, v187                             // 00000000480C: 0B7777C4
	s_barrier                                                  // 000000004810: BF8A0000
	v_cvt_pk_fp8_f32 v60, v60, v61                             // 000000004814: D2A2003C 00027B3C
	v_cvt_pk_fp8_f32 v60, v62, v63 op_sel:[0,0,1]              // 00000000481C: D2A2403C 00027F3E
	v_cvt_pk_fp8_f32 v61, v64, v65                             // 000000004824: D2A2003D 00028340
	v_cvt_pk_fp8_f32 v61, v66, v67 op_sel:[0,0,1]              // 00000000482C: D2A2403D 00028742
	v_cvt_pk_fp8_f32 v62, v68, v69                             // 000000004834: D2A2003E 00028B44
	v_cvt_pk_fp8_f32 v62, v70, v71 op_sel:[0,0,1]              // 00000000483C: D2A2403E 00028F46
	v_cvt_pk_fp8_f32 v63, v72, v73                             // 000000004844: D2A2003F 00029348
	v_cvt_pk_fp8_f32 v63, v74, v75 op_sel:[0,0,1]              // 00000000484C: D2A2403F 0002974A
	v_cvt_pk_fp8_f32 v64, v76, v77                             // 000000004854: D2A20040 00029B4C
	v_cvt_pk_fp8_f32 v64, v78, v79 op_sel:[0,0,1]              // 00000000485C: D2A24040 00029F4E
	v_cvt_pk_fp8_f32 v65, v80, v81                             // 000000004864: D2A20041 0002A350
	v_cvt_pk_fp8_f32 v65, v82, v83 op_sel:[0,0,1]              // 00000000486C: D2A24041 0002A752
	v_cvt_pk_fp8_f32 v66, v84, v85                             // 000000004874: D2A20042 0002AB54
	v_cvt_pk_fp8_f32 v66, v86, v87 op_sel:[0,0,1]              // 00000000487C: D2A24042 0002AF56
	v_cvt_pk_fp8_f32 v67, v88, v89                             // 000000004884: D2A20043 0002B358
	v_cvt_pk_fp8_f32 v67, v90, v91 op_sel:[0,0,1]              // 00000000488C: D2A24043 0002B75A
	v_cvt_pk_fp8_f32 v68, v92, v93                             // 000000004894: D2A20044 0002BB5C
	v_cvt_pk_fp8_f32 v68, v94, v95 op_sel:[0,0,1]              // 00000000489C: D2A24044 0002BF5E
	v_cvt_pk_fp8_f32 v69, v96, v97                             // 0000000048A4: D2A20045 0002C360
	v_cvt_pk_fp8_f32 v69, v98, v99 op_sel:[0,0,1]              // 0000000048AC: D2A24045 0002C762
	v_cvt_pk_fp8_f32 v70, v100, v101                           // 0000000048B4: D2A20046 0002CB64
	v_cvt_pk_fp8_f32 v70, v102, v103 op_sel:[0,0,1]            // 0000000048BC: D2A24046 0002CF66
	v_cvt_pk_fp8_f32 v71, v104, v105                           // 0000000048C4: D2A20047 0002D368
	v_cvt_pk_fp8_f32 v71, v106, v107 op_sel:[0,0,1]            // 0000000048CC: D2A24047 0002D76A
	v_cvt_pk_fp8_f32 v72, v108, v109                           // 0000000048D4: D2A20048 0002DB6C
	v_cvt_pk_fp8_f32 v72, v110, v111 op_sel:[0,0,1]            // 0000000048DC: D2A24048 0002DF6E
	v_cvt_pk_fp8_f32 v73, v112, v113                           // 0000000048E4: D2A20049 0002E370
	v_cvt_pk_fp8_f32 v73, v114, v115 op_sel:[0,0,1]            // 0000000048EC: D2A24049 0002E772
	v_cvt_pk_fp8_f32 v74, v116, v117                           // 0000000048F4: D2A2004A 0002EB74
	v_cvt_pk_fp8_f32 v74, v118, v119 op_sel:[0,0,1]            // 0000000048FC: D2A2404A 0002EF76
	v_cvt_pk_fp8_f32 v75, v120, v121                           // 000000004904: D2A2004B 0002F378
	v_cvt_pk_fp8_f32 v75, v122, v123 op_sel:[0,0,1]            // 00000000490C: D2A2404B 0002F77A
	s_barrier                                                  // 000000004914: BF8A0000
	s_waitcnt lgkmcnt(8)                                       // 000000004918: BF8CC87F
	s_setprio 1                                                // 00000000491C: BF8F0001
	s_barrier                                                  // 000000004920: BF8A0000
	v_mfma_f32_32x32x64_f8f6f4 v[124:139], v[28:35], v[60:67], v[124:139]// 000000004924: D3AE007C 05F2791C
	ds_read_b64_tr_b8 v[52:53], v227 offset:8352               // 00000000492C: D9C420A0 340000E3
	ds_read_b64_tr_b8 v[54:55], v227 offset:8608               // 000000004934: D9C421A0 360000E3
	ds_read_b64_tr_b8 v[56:57], v227 offset:8864               // 00000000493C: D9C422A0 380000E3
	ds_read_b64_tr_b8 v[58:59], v227 offset:9120               // 000000004944: D9C423A0 3A0000E3
	s_waitcnt lgkmcnt(8)                                       // 00000000494C: BF8CC87F
	v_mfma_f32_32x32x64_f8f6f4 v[124:139], v[36:43], v[68:75], v[124:139]// 000000004950: D3AE007C 05F28924
	ds_read_b64_tr_b8 v[28:29], v227 offset:64                 // 000000004958: D9C40040 1C0000E3
	ds_read_b64_tr_b8 v[30:31], v227 offset:320                // 000000004960: D9C40140 1E0000E3
	ds_read_b64_tr_b8 v[32:33], v227 offset:576                // 000000004968: D9C40240 200000E3
	ds_read_b64_tr_b8 v[34:35], v227 offset:832                // 000000004970: D9C40340 220000E3
	s_waitcnt lgkmcnt(8)                                       // 000000004978: BF8CC87F
	v_mfma_f32_32x32x64_f8f6f4 v[140:155], v[44:51], v[60:67], v[140:155]// 00000000497C: D3AE008C 0632792C
	ds_read_b64_tr_b8 v[36:37], v227 offset:8384               // 000000004984: D9C420C0 240000E3
	ds_read_b64_tr_b8 v[38:39], v227 offset:8640               // 00000000498C: D9C421C0 260000E3
	ds_read_b64_tr_b8 v[40:41], v227 offset:8896               // 000000004994: D9C422C0 280000E3
	ds_read_b64_tr_b8 v[42:43], v227 offset:9152               // 00000000499C: D9C423C0 2A0000E3
	s_waitcnt lgkmcnt(8)                                       // 0000000049A4: BF8CC87F
	v_mfma_f32_32x32x64_f8f6f4 v[140:155], v[52:59], v[68:75], v[140:155]// 0000000049A8: D3AE008C 06328934
	ds_read_b64_tr_b8 v[44:45], v227 offset:96                 // 0000000049B0: D9C40060 2C0000E3
	ds_read_b64_tr_b8 v[46:47], v227 offset:352                // 0000000049B8: D9C40160 2E0000E3
	ds_read_b64_tr_b8 v[48:49], v227 offset:608                // 0000000049C0: D9C40260 300000E3
	ds_read_b64_tr_b8 v[50:51], v227 offset:864                // 0000000049C8: D9C40360 320000E3
	s_waitcnt lgkmcnt(8)                                       // 0000000049D0: BF8CC87F
	v_mfma_f32_32x32x64_f8f6f4 v[156:171], v[28:35], v[60:67], v[156:171]// 0000000049D4: D3AE009C 0672791C
	ds_read_b64_tr_b8 v[52:53], v227 offset:8416               // 0000000049DC: D9C420E0 340000E3
	ds_read_b64_tr_b8 v[54:55], v227 offset:8672               // 0000000049E4: D9C421E0 360000E3
	ds_read_b64_tr_b8 v[56:57], v227 offset:8928               // 0000000049EC: D9C422E0 380000E3
	ds_read_b64_tr_b8 v[58:59], v227 offset:9184               // 0000000049F4: D9C423E0 3A0000E3
	s_waitcnt lgkmcnt(8)                                       // 0000000049FC: BF8CC87F
	v_mfma_f32_32x32x64_f8f6f4 v[156:171], v[36:43], v[68:75], v[156:171]// 000000004A00: D3AE009C 06728924
	ds_read_b128 v[28:31], v226 offset:24960                   // 000000004A08: D9FE6180 1C0000E2
	ds_read_b128 v[32:35], v226 offset:24992                   // 000000004A10: D9FE61A0 200000E2
	s_waitcnt lgkmcnt(6)                                       // 000000004A18: BF8CC67F
	v_mfma_f32_32x32x64_f8f6f4 v[172:187], v[44:51], v[60:67], v[172:187]// 000000004A1C: D3AE00AC 06B2792C
	ds_read_b128 v[36:39], v226 offset:29120                   // 000000004A24: D9FE71C0 240000E2
	ds_read_b128 v[40:43], v226 offset:29152                   // 000000004A2C: D9FE71E0 280000E2
	s_waitcnt lgkmcnt(4)                                       // 000000004A34: BF8CC47F
	v_mfma_f32_32x32x64_f8f6f4 v[172:187], v[52:59], v[68:75], v[172:187]// 000000004A38: D3AE00AC 06B28934
	ds_read_b128 v[44:47], v226 offset:33280                   // 000000004A40: D9FE8200 2C0000E2
	ds_read_b128 v[48:51], v226 offset:33312                   // 000000004A48: D9FE8220 300000E2
	s_addk_i32 s72, 0x80                                       // 000000004A50: B7480080
	s_cmp_lt_i32 s72, s73                                      // 000000004A54: BF044948
	s_cbranch_scc0 label_16AE                                  // 000000004A58: BF840D17
	s_waitcnt lgkmcnt(4)                                       // 000000004A5C: BF8CC47F
	v_mfma_f32_32x32x64_f8f6f4 v[60:75], v[28:35], v[4:11], 0  // 000000004A60: D3AE003C 0202091C
	v_mul_i32_i24_dpp v192, v189, v235 quad_perm:[0,0,0,0] row_mask:0xf bank_mask:0xf// 000000004A68: 0D81D6FA FF0000BD
	v_mul_i32_i24_dpp v193, v189, v235 quad_perm:[1,1,1,1] row_mask:0xf bank_mask:0xf// 000000004A70: 0D83D6FA FF0055BD
	v_mul_i32_i24_dpp v194, v189, v235 quad_perm:[2,2,2,2] row_mask:0xf bank_mask:0xf// 000000004A78: 0D85D6FA FF00AABD
	v_mul_i32_i24_dpp v195, v189, v235 quad_perm:[3,3,3,3] row_mask:0xf bank_mask:0xf// 000000004A80: 0D87D6FA FF00FFBD
	v_add_u32_e32 v222, v221, v192                             // 000000004A88: 69BD81DD
	v_add_u32_e32 v223, v221, v193                             // 000000004A8C: 69BF83DD
	v_add_u32_e32 v224, v221, v194                             // 000000004A90: 69C185DD
	v_add_u32_e32 v225, v221, v195                             // 000000004A94: 69C387DD
	ds_read_b128 v[52:55], v226 offset:25472                   // 000000004A98: D9FE6380 340000E2
	ds_read_b128 v[56:59], v226 offset:25504                   // 000000004AA0: D9FE63A0 380000E2
	s_waitcnt lgkmcnt(4)                                       // 000000004AA8: BF8CC47F
	v_mfma_f32_32x32x64_f8f6f4 v[60:75], v[36:43], v[12:19], v[60:75]// 000000004AAC: D3AE003C 04F21924
	s_add_u32 m0, s94, 0                                       // 000000004AB4: 807C805E
	buffer_load_dwordx4 v222, s[12:15], 0 offen lds            // 000000004AB8: E05D1000 800300DE
	ds_read_b128 v[28:31], v226 offset:29632                   // 000000004AC0: D9FE73C0 1C0000E2
	ds_read_b128 v[32:35], v226 offset:29664                   // 000000004AC8: D9FE73E0 200000E2
	s_waitcnt lgkmcnt(4)                                       // 000000004AD0: BF8CC47F
	v_mfma_f32_32x32x64_f8f6f4 v[60:75], v[44:51], v[20:27], v[60:75]// 000000004AD4: D3AE003C 04F2292C
	s_add_u32 m0, s94, 0x410                                   // 000000004ADC: 807CFF5E 00000410
	buffer_load_dwordx4 v223, s[12:15], 0 offen lds            // 000000004AE4: E05D1000 800300DF
	ds_read_b128 v[36:39], v226 offset:33792                   // 000000004AEC: D9FE8400 240000E2
	ds_read_b128 v[40:43], v226 offset:33824                   // 000000004AF4: D9FE8420 280000E2
	s_waitcnt lgkmcnt(4)                                       // 000000004AFC: BF8CC47F
	v_mfma_f32_32x32x64_f8f6f4 v[76:91], v[52:59], v[4:11], 0  // 000000004B00: D3AE004C 02020934
	s_add_u32 m0, s94, 0x820                                   // 000000004B08: 807CFF5E 00000820
	buffer_load_dwordx4 v224, s[12:15], 0 offen lds            // 000000004B10: E05D1000 800300E0
	ds_read_b128 v[44:47], v226 offset:37440                   // 000000004B18: D9FE9240 2C0000E2
	ds_read_b128 v[48:51], v226 offset:37472                   // 000000004B20: D9FE9260 300000E2
	s_waitcnt lgkmcnt(4)                                       // 000000004B28: BF8CC47F
	v_mfma_f32_32x32x64_f8f6f4 v[76:91], v[28:35], v[12:19], v[76:91]// 000000004B2C: D3AE004C 0532191C
	s_add_u32 m0, s94, 0xc30                                   // 000000004B34: 807CFF5E 00000C30
	buffer_load_dwordx4 v225, s[12:15], 0 offen lds            // 000000004B3C: E05D1000 800300E1
	ds_read_b128 v[52:55], v226 offset:41600                   // 000000004B44: D9FEA280 340000E2
	ds_read_b128 v[56:59], v226 offset:41632                   // 000000004B4C: D9FEA2A0 380000E2
	s_waitcnt lgkmcnt(4)                                       // 000000004B54: BF8CC47F
	v_mfma_f32_32x32x64_f8f6f4 v[76:91], v[36:43], v[20:27], v[76:91]// 000000004B58: D3AE004C 05322924
	ds_read_b128 v[28:31], v226 offset:45760                   // 000000004B60: D9FEB2C0 1C0000E2
	ds_read_b128 v[32:35], v226 offset:45792                   // 000000004B68: D9FEB2E0 200000E2
	s_waitcnt lgkmcnt(4)                                       // 000000004B70: BF8CC47F
	v_mfma_f32_32x32x64_f8f6f4 v[92:107], v[44:51], v[4:11], 0 // 000000004B74: D3AE005C 0202092C
	ds_read_b128 v[36:39], v226 offset:37952                   // 000000004B7C: D9FE9440 240000E2
	ds_read_b128 v[40:43], v226 offset:37984                   // 000000004B84: D9FE9460 280000E2
	s_waitcnt lgkmcnt(4)                                       // 000000004B8C: BF8CC47F
	v_mfma_f32_32x32x64_f8f6f4 v[92:107], v[52:59], v[12:19], v[92:107]// 000000004B90: D3AE005C 05721934
	ds_read_b128 v[44:47], v226 offset:42112                   // 000000004B98: D9FEA480 2C0000E2
	ds_read_b128 v[48:51], v226 offset:42144                   // 000000004BA0: D9FEA4A0 300000E2
	s_waitcnt lgkmcnt(4)                                       // 000000004BA8: BF8CC47F
	v_mfma_f32_32x32x64_f8f6f4 v[92:107], v[28:35], v[20:27], v[92:107]// 000000004BAC: D3AE005C 0572291C
	ds_read_b128 v[52:55], v226 offset:46272                   // 000000004BB4: D9FEB4C0 340000E2
	ds_read_b128 v[56:59], v226 offset:46304                   // 000000004BBC: D9FEB4E0 380000E2
	s_waitcnt lgkmcnt(4)                                       // 000000004BC4: BF8CC47F
	v_mfma_f32_32x32x64_f8f6f4 v[108:123], v[36:43], v[4:11], 0// 000000004BC8: D3AE006C 02020924
	ds_read_b64_tr_b8 v[28:29], v227 offset:16640              // 000000004BD0: D9C44100 1C0000E3
	ds_read_b64_tr_b8 v[30:31], v227 offset:16896              // 000000004BD8: D9C44200 1E0000E3
	ds_read_b64_tr_b8 v[32:33], v227 offset:17152              // 000000004BE0: D9C44300 200000E3
	ds_read_b64_tr_b8 v[34:35], v227 offset:17408              // 000000004BE8: D9C44400 220000E3
	s_waitcnt lgkmcnt(6)                                       // 000000004BF0: BF8CC67F
	v_mfma_f32_32x32x64_f8f6f4 v[108:123], v[44:51], v[12:19], v[108:123]// 000000004BF4: D3AE006C 05B2192C
	ds_read_b64_tr_b8 v[36:37], v227 offset:24960              // 000000004BFC: D9C46180 240000E3
	ds_read_b64_tr_b8 v[38:39], v227 offset:25216              // 000000004C04: D9C46280 260000E3
	ds_read_b64_tr_b8 v[40:41], v227 offset:25472              // 000000004C0C: D9C46380 280000E3
	ds_read_b64_tr_b8 v[42:43], v227 offset:25728              // 000000004C14: D9C46480 2A0000E3
	s_waitcnt lgkmcnt(8)                                       // 000000004C1C: BF8CC87F
	v_mfma_f32_32x32x64_f8f6f4 v[108:123], v[52:59], v[20:27], v[108:123]// 000000004C20: D3AE006C 05B22934
	ds_read_b64_tr_b8 v[44:45], v227 offset:16672              // 000000004C28: D9C44120 2C0000E3
	ds_read_b64_tr_b8 v[46:47], v227 offset:16928              // 000000004C30: D9C44220 2E0000E3
	ds_read_b64_tr_b8 v[48:49], v227 offset:17184              // 000000004C38: D9C44320 300000E3
	ds_read_b64_tr_b8 v[50:51], v227 offset:17440              // 000000004C40: D9C44420 320000E3
	s_nop 0                                                    // 000000004C48: BF800000
	s_nop 4                                                    // 000000004C4C: BF800004
	s_barrier                                                  // 000000004C50: BF8A0000
	s_setprio 0                                                // 000000004C54: BF8F0000
	s_barrier                                                  // 000000004C58: BF8A0000
	v_mov_b32_e32 v201, v200                                   // 000000004C5C: 7F9203C8
	v_max3_f32 v201, v60, v61, v201                            // 000000004C60: D1D300C9 07267B3C
	v_max3_f32 v201, v62, v63, v201                            // 000000004C68: D1D300C9 07267F3E
	v_max3_f32 v201, v64, v65, v201                            // 000000004C70: D1D300C9 07268340
	v_max3_f32 v201, v66, v67, v201                            // 000000004C78: D1D300C9 07268742
	v_max3_f32 v201, v68, v69, v201                            // 000000004C80: D1D300C9 07268B44
	v_max3_f32 v201, v70, v71, v201                            // 000000004C88: D1D300C9 07268F46
	v_max3_f32 v201, v72, v73, v201                            // 000000004C90: D1D300C9 07269348
	v_max3_f32 v201, v74, v75, v201                            // 000000004C98: D1D300C9 0726974A
	v_max3_f32 v201, v76, v77, v201                            // 000000004CA0: D1D300C9 07269B4C
	v_max3_f32 v201, v78, v79, v201                            // 000000004CA8: D1D300C9 07269F4E
	v_max3_f32 v201, v80, v81, v201                            // 000000004CB0: D1D300C9 0726A350
	v_max3_f32 v201, v82, v83, v201                            // 000000004CB8: D1D300C9 0726A752
	v_max3_f32 v201, v84, v85, v201                            // 000000004CC0: D1D300C9 0726AB54
	v_max3_f32 v201, v86, v87, v201                            // 000000004CC8: D1D300C9 0726AF56
	v_max3_f32 v201, v88, v89, v201                            // 000000004CD0: D1D300C9 0726B358
	v_max3_f32 v201, v90, v91, v201                            // 000000004CD8: D1D300C9 0726B75A
	v_max3_f32 v201, v92, v93, v201                            // 000000004CE0: D1D300C9 0726BB5C
	v_max3_f32 v201, v94, v95, v201                            // 000000004CE8: D1D300C9 0726BF5E
	v_max3_f32 v201, v96, v97, v201                            // 000000004CF0: D1D300C9 0726C360
	v_max3_f32 v201, v98, v99, v201                            // 000000004CF8: D1D300C9 0726C762
	v_max3_f32 v201, v100, v101, v201                          // 000000004D00: D1D300C9 0726CB64
	v_max3_f32 v201, v102, v103, v201                          // 000000004D08: D1D300C9 0726CF66
	v_max3_f32 v201, v104, v105, v201                          // 000000004D10: D1D300C9 0726D368
	v_max3_f32 v201, v106, v107, v201                          // 000000004D18: D1D300C9 0726D76A
	v_max3_f32 v201, v108, v109, v201                          // 000000004D20: D1D300C9 0726DB6C
	v_max3_f32 v201, v110, v111, v201                          // 000000004D28: D1D300C9 0726DF6E
	v_max3_f32 v201, v112, v113, v201                          // 000000004D30: D1D300C9 0726E370
	v_max3_f32 v201, v114, v115, v201                          // 000000004D38: D1D300C9 0726E772
	v_max3_f32 v201, v116, v117, v201                          // 000000004D40: D1D300C9 0726EB74
	v_max3_f32 v201, v118, v119, v201                          // 000000004D48: D1D300C9 0726EF76
	v_max3_f32 v201, v120, v121, v201                          // 000000004D50: D1D300C9 0726F378
	v_max3_f32 v201, v122, v123, v201                          // 000000004D58: D1D300C9 0726F77A
	v_mov_b32_e32 v192, v201                                   // 000000004D60: 7F8003C9
	s_nop 1                                                    // 000000004D64: BF800001
	s_nop 0                                                    // 000000004D68: BF800000
	v_permlane32_swap_b32_e32 v192, v201                       // 000000004D6C: 7F80B5C9
	v_max_f32_e32 v201, v201, v192                             // 000000004D70: 179381C9
	v_mul_f32_e64 v192, -s54, v201                             // 000000004D74: D10500C0 20039236
	v_mov_b32_e32 v193, v192                                   // 000000004D7C: 7F8203C0
	v_pk_fma_f32 v[60:61], v[60:61], s[54:55], v[192:193]      // 000000004D80: D3B0403C 1F006D3C
	v_pk_fma_f32 v[62:63], v[62:63], s[54:55], v[192:193]      // 000000004D88: D3B0403E 1F006D3E
	v_pk_fma_f32 v[64:65], v[64:65], s[54:55], v[192:193]      // 000000004D90: D3B04040 1F006D40
	v_pk_fma_f32 v[66:67], v[66:67], s[54:55], v[192:193]      // 000000004D98: D3B04042 1F006D42
	v_pk_fma_f32 v[68:69], v[68:69], s[54:55], v[192:193]      // 000000004DA0: D3B04044 1F006D44
	v_pk_fma_f32 v[70:71], v[70:71], s[54:55], v[192:193]      // 000000004DA8: D3B04046 1F006D46
	v_pk_fma_f32 v[72:73], v[72:73], s[54:55], v[192:193]      // 000000004DB0: D3B04048 1F006D48
	v_pk_fma_f32 v[74:75], v[74:75], s[54:55], v[192:193]      // 000000004DB8: D3B0404A 1F006D4A
	v_pk_fma_f32 v[76:77], v[76:77], s[54:55], v[192:193]      // 000000004DC0: D3B0404C 1F006D4C
	v_pk_fma_f32 v[78:79], v[78:79], s[54:55], v[192:193]      // 000000004DC8: D3B0404E 1F006D4E
	v_pk_fma_f32 v[80:81], v[80:81], s[54:55], v[192:193]      // 000000004DD0: D3B04050 1F006D50
	v_pk_fma_f32 v[82:83], v[82:83], s[54:55], v[192:193]      // 000000004DD8: D3B04052 1F006D52
	v_pk_fma_f32 v[84:85], v[84:85], s[54:55], v[192:193]      // 000000004DE0: D3B04054 1F006D54
	v_pk_fma_f32 v[86:87], v[86:87], s[54:55], v[192:193]      // 000000004DE8: D3B04056 1F006D56
	v_pk_fma_f32 v[88:89], v[88:89], s[54:55], v[192:193]      // 000000004DF0: D3B04058 1F006D58
	v_pk_fma_f32 v[90:91], v[90:91], s[54:55], v[192:193]      // 000000004DF8: D3B0405A 1F006D5A
	v_pk_fma_f32 v[92:93], v[92:93], s[54:55], v[192:193]      // 000000004E00: D3B0405C 1F006D5C
	v_pk_fma_f32 v[94:95], v[94:95], s[54:55], v[192:193]      // 000000004E08: D3B0405E 1F006D5E
	v_pk_fma_f32 v[96:97], v[96:97], s[54:55], v[192:193]      // 000000004E10: D3B04060 1F006D60
	v_pk_fma_f32 v[98:99], v[98:99], s[54:55], v[192:193]      // 000000004E18: D3B04062 1F006D62
	v_pk_fma_f32 v[100:101], v[100:101], s[54:55], v[192:193]  // 000000004E20: D3B04064 1F006D64
	v_pk_fma_f32 v[102:103], v[102:103], s[54:55], v[192:193]  // 000000004E28: D3B04066 1F006D66
	v_pk_fma_f32 v[104:105], v[104:105], s[54:55], v[192:193]  // 000000004E30: D3B04068 1F006D68
	v_pk_fma_f32 v[106:107], v[106:107], s[54:55], v[192:193]  // 000000004E38: D3B0406A 1F006D6A
	v_pk_fma_f32 v[108:109], v[108:109], s[54:55], v[192:193]  // 000000004E40: D3B0406C 1F006D6C
	v_pk_fma_f32 v[110:111], v[110:111], s[54:55], v[192:193]  // 000000004E48: D3B0406E 1F006D6E
	v_pk_fma_f32 v[112:113], v[112:113], s[54:55], v[192:193]  // 000000004E50: D3B04070 1F006D70
	v_pk_fma_f32 v[114:115], v[114:115], s[54:55], v[192:193]  // 000000004E58: D3B04072 1F006D72
	v_pk_fma_f32 v[116:117], v[116:117], s[54:55], v[192:193]  // 000000004E60: D3B04074 1F006D74
	v_pk_fma_f32 v[118:119], v[118:119], s[54:55], v[192:193]  // 000000004E68: D3B04076 1F006D76
	v_pk_fma_f32 v[120:121], v[120:121], s[54:55], v[192:193]  // 000000004E70: D3B04078 1F006D78
	v_pk_fma_f32 v[122:123], v[122:123], s[54:55], v[192:193]  // 000000004E78: D3B0407A 1F006D7A
	s_barrier                                                  // 000000004E80: BF8A0000
	v_exp_f32_e32 v60, v60                                     // 000000004E84: 7E78413C
	v_exp_f32_e32 v61, v61                                     // 000000004E88: 7E7A413D
	v_exp_f32_e32 v62, v62                                     // 000000004E8C: 7E7C413E
	v_exp_f32_e32 v63, v63                                     // 000000004E90: 7E7E413F
	v_exp_f32_e32 v64, v64                                     // 000000004E94: 7E804140
	v_exp_f32_e32 v65, v65                                     // 000000004E98: 7E824141
	v_exp_f32_e32 v66, v66                                     // 000000004E9C: 7E844142
	v_exp_f32_e32 v67, v67                                     // 000000004EA0: 7E864143
	v_exp_f32_e32 v68, v68                                     // 000000004EA4: 7E884144
	v_exp_f32_e32 v69, v69                                     // 000000004EA8: 7E8A4145
	v_exp_f32_e32 v70, v70                                     // 000000004EAC: 7E8C4146
	v_exp_f32_e32 v71, v71                                     // 000000004EB0: 7E8E4147
	v_exp_f32_e32 v72, v72                                     // 000000004EB4: 7E904148
	v_exp_f32_e32 v73, v73                                     // 000000004EB8: 7E924149
	v_exp_f32_e32 v74, v74                                     // 000000004EBC: 7E94414A
	v_exp_f32_e32 v75, v75                                     // 000000004EC0: 7E96414B
	v_exp_f32_e32 v76, v76                                     // 000000004EC4: 7E98414C
	v_exp_f32_e32 v77, v77                                     // 000000004EC8: 7E9A414D
	v_exp_f32_e32 v78, v78                                     // 000000004ECC: 7E9C414E
	v_exp_f32_e32 v79, v79                                     // 000000004ED0: 7E9E414F
	v_exp_f32_e32 v80, v80                                     // 000000004ED4: 7EA04150
	v_exp_f32_e32 v81, v81                                     // 000000004ED8: 7EA24151
	v_exp_f32_e32 v82, v82                                     // 000000004EDC: 7EA44152
	v_exp_f32_e32 v83, v83                                     // 000000004EE0: 7EA64153
	v_exp_f32_e32 v84, v84                                     // 000000004EE4: 7EA84154
	v_exp_f32_e32 v85, v85                                     // 000000004EE8: 7EAA4155
	v_exp_f32_e32 v86, v86                                     // 000000004EEC: 7EAC4156
	v_exp_f32_e32 v87, v87                                     // 000000004EF0: 7EAE4157
	v_exp_f32_e32 v88, v88                                     // 000000004EF4: 7EB04158
	v_exp_f32_e32 v89, v89                                     // 000000004EF8: 7EB24159
	v_exp_f32_e32 v90, v90                                     // 000000004EFC: 7EB4415A
	v_exp_f32_e32 v91, v91                                     // 000000004F00: 7EB6415B
	v_exp_f32_e32 v92, v92                                     // 000000004F04: 7EB8415C
	v_exp_f32_e32 v93, v93                                     // 000000004F08: 7EBA415D
	v_exp_f32_e32 v94, v94                                     // 000000004F0C: 7EBC415E
	v_exp_f32_e32 v95, v95                                     // 000000004F10: 7EBE415F
	v_exp_f32_e32 v96, v96                                     // 000000004F14: 7EC04160
	v_exp_f32_e32 v97, v97                                     // 000000004F18: 7EC24161
	v_exp_f32_e32 v98, v98                                     // 000000004F1C: 7EC44162
	v_exp_f32_e32 v99, v99                                     // 000000004F20: 7EC64163
	v_exp_f32_e32 v100, v100                                   // 000000004F24: 7EC84164
	v_exp_f32_e32 v101, v101                                   // 000000004F28: 7ECA4165
	v_exp_f32_e32 v102, v102                                   // 000000004F2C: 7ECC4166
	v_exp_f32_e32 v103, v103                                   // 000000004F30: 7ECE4167
	v_exp_f32_e32 v104, v104                                   // 000000004F34: 7ED04168
	v_exp_f32_e32 v105, v105                                   // 000000004F38: 7ED24169
	v_exp_f32_e32 v106, v106                                   // 000000004F3C: 7ED4416A
	v_exp_f32_e32 v107, v107                                   // 000000004F40: 7ED6416B
	v_exp_f32_e32 v108, v108                                   // 000000004F44: 7ED8416C
	v_exp_f32_e32 v109, v109                                   // 000000004F48: 7EDA416D
	v_exp_f32_e32 v110, v110                                   // 000000004F4C: 7EDC416E
	v_exp_f32_e32 v111, v111                                   // 000000004F50: 7EDE416F
	v_exp_f32_e32 v112, v112                                   // 000000004F54: 7EE04170
	v_exp_f32_e32 v113, v113                                   // 000000004F58: 7EE24171
	v_exp_f32_e32 v114, v114                                   // 000000004F5C: 7EE44172
	v_exp_f32_e32 v115, v115                                   // 000000004F60: 7EE64173
	v_exp_f32_e32 v116, v116                                   // 000000004F64: 7EE84174
	v_exp_f32_e32 v117, v117                                   // 000000004F68: 7EEA4175
	v_exp_f32_e32 v118, v118                                   // 000000004F6C: 7EEC4176
	v_exp_f32_e32 v119, v119                                   // 000000004F70: 7EEE4177
	v_exp_f32_e32 v120, v120                                   // 000000004F74: 7EF04178
	v_exp_f32_e32 v121, v121                                   // 000000004F78: 7EF24179
	v_exp_f32_e32 v122, v122                                   // 000000004F7C: 7EF4417A
	v_exp_f32_e32 v123, v123                                   // 000000004F80: 7EF6417B
	v_sub_f32_e32 v196, v200, v201                             // 000000004F84: 058993C8
	v_cmp_eq_u32_e64 s[64:65], v205, v200                      // 000000004F88: D0CA0040 000391CD
	s_nop 0                                                    // 000000004F90: BF800000
	v_cndmask_b32_e64 v196, v196, 0, s[64:65]                  // 000000004F94: D10000C4 010101C4
	v_mov_b32_e32 v200, v201                                   // 000000004F9C: 7F9003C9
	v_mul_f32_e32 v196, s54, v196                              // 000000004FA0: 0B898836
	v_exp_f32_e32 v196, v196                                   // 000000004FA4: 7F8841C4
	s_nop 0                                                    // 000000004FA8: BF800000
	v_mul_f32_e32 v198, v196, v198                             // 000000004FAC: 0B8D8DC4
	v_add_f32_e32 v198, v60, v198                              // 000000004FB0: 038D8D3C
	v_add_f32_e32 v198, v61, v198                              // 000000004FB4: 038D8D3D
	v_add_f32_e32 v198, v62, v198                              // 000000004FB8: 038D8D3E
	v_add_f32_e32 v198, v63, v198                              // 000000004FBC: 038D8D3F
	v_add_f32_e32 v198, v64, v198                              // 000000004FC0: 038D8D40
	v_add_f32_e32 v198, v65, v198                              // 000000004FC4: 038D8D41
	v_add_f32_e32 v198, v66, v198                              // 000000004FC8: 038D8D42
	v_add_f32_e32 v198, v67, v198                              // 000000004FCC: 038D8D43
	v_add_f32_e32 v198, v68, v198                              // 000000004FD0: 038D8D44
	v_add_f32_e32 v198, v69, v198                              // 000000004FD4: 038D8D45
	v_add_f32_e32 v198, v70, v198                              // 000000004FD8: 038D8D46
	v_add_f32_e32 v198, v71, v198                              // 000000004FDC: 038D8D47
	v_add_f32_e32 v198, v72, v198                              // 000000004FE0: 038D8D48
	v_add_f32_e32 v198, v73, v198                              // 000000004FE4: 038D8D49
	v_add_f32_e32 v198, v74, v198                              // 000000004FE8: 038D8D4A
	v_add_f32_e32 v198, v75, v198                              // 000000004FEC: 038D8D4B
	v_add_f32_e32 v198, v76, v198                              // 000000004FF0: 038D8D4C
	v_add_f32_e32 v198, v77, v198                              // 000000004FF4: 038D8D4D
	v_add_f32_e32 v198, v78, v198                              // 000000004FF8: 038D8D4E
	v_add_f32_e32 v198, v79, v198                              // 000000004FFC: 038D8D4F
	v_add_f32_e32 v198, v80, v198                              // 000000005000: 038D8D50
	v_add_f32_e32 v198, v81, v198                              // 000000005004: 038D8D51
	v_add_f32_e32 v198, v82, v198                              // 000000005008: 038D8D52
	v_add_f32_e32 v198, v83, v198                              // 00000000500C: 038D8D53
	v_add_f32_e32 v198, v84, v198                              // 000000005010: 038D8D54
	v_add_f32_e32 v198, v85, v198                              // 000000005014: 038D8D55
	v_add_f32_e32 v198, v86, v198                              // 000000005018: 038D8D56
	v_add_f32_e32 v198, v87, v198                              // 00000000501C: 038D8D57
	v_add_f32_e32 v198, v88, v198                              // 000000005020: 038D8D58
	v_add_f32_e32 v198, v89, v198                              // 000000005024: 038D8D59
	v_add_f32_e32 v198, v90, v198                              // 000000005028: 038D8D5A
	v_add_f32_e32 v198, v91, v198                              // 00000000502C: 038D8D5B
	v_add_f32_e32 v198, v92, v198                              // 000000005030: 038D8D5C
	v_add_f32_e32 v198, v93, v198                              // 000000005034: 038D8D5D
	v_add_f32_e32 v198, v94, v198                              // 000000005038: 038D8D5E
	v_add_f32_e32 v198, v95, v198                              // 00000000503C: 038D8D5F
	v_add_f32_e32 v198, v96, v198                              // 000000005040: 038D8D60
	v_add_f32_e32 v198, v97, v198                              // 000000005044: 038D8D61
	v_add_f32_e32 v198, v98, v198                              // 000000005048: 038D8D62
	v_add_f32_e32 v198, v99, v198                              // 00000000504C: 038D8D63
	v_add_f32_e32 v198, v100, v198                             // 000000005050: 038D8D64
	v_add_f32_e32 v198, v101, v198                             // 000000005054: 038D8D65
	v_add_f32_e32 v198, v102, v198                             // 000000005058: 038D8D66
	v_add_f32_e32 v198, v103, v198                             // 00000000505C: 038D8D67
	v_add_f32_e32 v198, v104, v198                             // 000000005060: 038D8D68
	v_add_f32_e32 v198, v105, v198                             // 000000005064: 038D8D69
	v_add_f32_e32 v198, v106, v198                             // 000000005068: 038D8D6A
	v_add_f32_e32 v198, v107, v198                             // 00000000506C: 038D8D6B
	v_add_f32_e32 v198, v108, v198                             // 000000005070: 038D8D6C
	v_add_f32_e32 v198, v109, v198                             // 000000005074: 038D8D6D
	v_add_f32_e32 v198, v110, v198                             // 000000005078: 038D8D6E
	v_add_f32_e32 v198, v111, v198                             // 00000000507C: 038D8D6F
	v_add_f32_e32 v198, v112, v198                             // 000000005080: 038D8D70
	v_add_f32_e32 v198, v113, v198                             // 000000005084: 038D8D71
	v_add_f32_e32 v198, v114, v198                             // 000000005088: 038D8D72
	v_add_f32_e32 v198, v115, v198                             // 00000000508C: 038D8D73
	v_add_f32_e32 v198, v116, v198                             // 000000005090: 038D8D74
	v_add_f32_e32 v198, v117, v198                             // 000000005094: 038D8D75
	v_add_f32_e32 v198, v118, v198                             // 000000005098: 038D8D76
	v_add_f32_e32 v198, v119, v198                             // 00000000509C: 038D8D77
	v_add_f32_e32 v198, v120, v198                             // 0000000050A0: 038D8D78
	v_add_f32_e32 v198, v121, v198                             // 0000000050A4: 038D8D79
	v_add_f32_e32 v198, v122, v198                             // 0000000050A8: 038D8D7A
	v_add_f32_e32 v198, v123, v198                             // 0000000050AC: 038D8D7B
	v_mul_f32_e32 v124, v196, v124                             // 0000000050B0: 0AF8F9C4
	v_mul_f32_e32 v125, v196, v125                             // 0000000050B4: 0AFAFBC4
	v_mul_f32_e32 v126, v196, v126                             // 0000000050B8: 0AFCFDC4
	v_mul_f32_e32 v127, v196, v127                             // 0000000050BC: 0AFEFFC4
	v_mul_f32_e32 v128, v196, v128                             // 0000000050C0: 0B0101C4
	v_mul_f32_e32 v129, v196, v129                             // 0000000050C4: 0B0303C4
	v_mul_f32_e32 v130, v196, v130                             // 0000000050C8: 0B0505C4
	v_mul_f32_e32 v131, v196, v131                             // 0000000050CC: 0B0707C4
	v_mul_f32_e32 v132, v196, v132                             // 0000000050D0: 0B0909C4
	v_mul_f32_e32 v133, v196, v133                             // 0000000050D4: 0B0B0BC4
	v_mul_f32_e32 v134, v196, v134                             // 0000000050D8: 0B0D0DC4
	v_mul_f32_e32 v135, v196, v135                             // 0000000050DC: 0B0F0FC4
	v_mul_f32_e32 v136, v196, v136                             // 0000000050E0: 0B1111C4
	v_mul_f32_e32 v137, v196, v137                             // 0000000050E4: 0B1313C4
	v_mul_f32_e32 v138, v196, v138                             // 0000000050E8: 0B1515C4
	v_mul_f32_e32 v139, v196, v139                             // 0000000050EC: 0B1717C4
	v_mul_f32_e32 v140, v196, v140                             // 0000000050F0: 0B1919C4
	v_mul_f32_e32 v141, v196, v141                             // 0000000050F4: 0B1B1BC4
	v_mul_f32_e32 v142, v196, v142                             // 0000000050F8: 0B1D1DC4
	v_mul_f32_e32 v143, v196, v143                             // 0000000050FC: 0B1F1FC4
	v_mul_f32_e32 v144, v196, v144                             // 000000005100: 0B2121C4
	v_mul_f32_e32 v145, v196, v145                             // 000000005104: 0B2323C4
	v_mul_f32_e32 v146, v196, v146                             // 000000005108: 0B2525C4
	v_mul_f32_e32 v147, v196, v147                             // 00000000510C: 0B2727C4
	v_mul_f32_e32 v148, v196, v148                             // 000000005110: 0B2929C4
	s_waitcnt vmcnt(0)                                         // 000000005114: BF8C0F70
	s_barrier                                                  // 000000005118: BF8A0000
	v_mul_f32_e32 v149, v196, v149                             // 00000000511C: 0B2B2BC4
	v_mul_f32_e32 v150, v196, v150                             // 000000005120: 0B2D2DC4
	v_mul_f32_e32 v151, v196, v151                             // 000000005124: 0B2F2FC4
	v_mul_f32_e32 v152, v196, v152                             // 000000005128: 0B3131C4
	v_mul_f32_e32 v153, v196, v153                             // 00000000512C: 0B3333C4
	v_mul_f32_e32 v154, v196, v154                             // 000000005130: 0B3535C4
	v_mul_f32_e32 v155, v196, v155                             // 000000005134: 0B3737C4
	v_mul_f32_e32 v156, v196, v156                             // 000000005138: 0B3939C4
	v_mul_f32_e32 v157, v196, v157                             // 00000000513C: 0B3B3BC4
	v_mul_f32_e32 v158, v196, v158                             // 000000005140: 0B3D3DC4
	v_mul_f32_e32 v159, v196, v159                             // 000000005144: 0B3F3FC4
	v_mul_f32_e32 v160, v196, v160                             // 000000005148: 0B4141C4
	v_mul_f32_e32 v161, v196, v161                             // 00000000514C: 0B4343C4
	v_mul_f32_e32 v162, v196, v162                             // 000000005150: 0B4545C4
	v_mul_f32_e32 v163, v196, v163                             // 000000005154: 0B4747C4
	v_mul_f32_e32 v164, v196, v164                             // 000000005158: 0B4949C4
	v_mul_f32_e32 v165, v196, v165                             // 00000000515C: 0B4B4BC4
	v_mul_f32_e32 v166, v196, v166                             // 000000005160: 0B4D4DC4
	v_mul_f32_e32 v167, v196, v167                             // 000000005164: 0B4F4FC4
	v_mul_f32_e32 v168, v196, v168                             // 000000005168: 0B5151C4
	v_mul_f32_e32 v169, v196, v169                             // 00000000516C: 0B5353C4
	v_mul_f32_e32 v170, v196, v170                             // 000000005170: 0B5555C4
	v_mul_f32_e32 v171, v196, v171                             // 000000005174: 0B5757C4
	v_mul_f32_e32 v172, v196, v172                             // 000000005178: 0B5959C4
	v_mul_f32_e32 v173, v196, v173                             // 00000000517C: 0B5B5BC4
	v_mul_f32_e32 v174, v196, v174                             // 000000005180: 0B5D5DC4
	v_mul_f32_e32 v175, v196, v175                             // 000000005184: 0B5F5FC4
	v_mul_f32_e32 v176, v196, v176                             // 000000005188: 0B6161C4
	v_mul_f32_e32 v177, v196, v177                             // 00000000518C: 0B6363C4
	v_mul_f32_e32 v178, v196, v178                             // 000000005190: 0B6565C4
	v_mul_f32_e32 v179, v196, v179                             // 000000005194: 0B6767C4
	v_mul_f32_e32 v180, v196, v180                             // 000000005198: 0B6969C4
	v_mul_f32_e32 v181, v196, v181                             // 00000000519C: 0B6B6BC4
	v_mul_f32_e32 v182, v196, v182                             // 0000000051A0: 0B6D6DC4
	v_mul_f32_e32 v183, v196, v183                             // 0000000051A4: 0B6F6FC4
	v_mul_f32_e32 v184, v196, v184                             // 0000000051A8: 0B7171C4
	v_mul_f32_e32 v185, v196, v185                             // 0000000051AC: 0B7373C4
	v_mul_f32_e32 v186, v196, v186                             // 0000000051B0: 0B7575C4
	v_mul_f32_e32 v187, v196, v187                             // 0000000051B4: 0B7777C4
	s_barrier                                                  // 0000000051B8: BF8A0000
	v_cvt_pk_fp8_f32 v60, v60, v61                             // 0000000051BC: D2A2003C 00027B3C
	v_cvt_pk_fp8_f32 v60, v62, v63 op_sel:[0,0,1]              // 0000000051C4: D2A2403C 00027F3E
	v_cvt_pk_fp8_f32 v61, v64, v65                             // 0000000051CC: D2A2003D 00028340
	v_cvt_pk_fp8_f32 v61, v66, v67 op_sel:[0,0,1]              // 0000000051D4: D2A2403D 00028742
	v_cvt_pk_fp8_f32 v62, v68, v69                             // 0000000051DC: D2A2003E 00028B44
	v_cvt_pk_fp8_f32 v62, v70, v71 op_sel:[0,0,1]              // 0000000051E4: D2A2403E 00028F46
	v_cvt_pk_fp8_f32 v63, v72, v73                             // 0000000051EC: D2A2003F 00029348
	v_cvt_pk_fp8_f32 v63, v74, v75 op_sel:[0,0,1]              // 0000000051F4: D2A2403F 0002974A
	v_cvt_pk_fp8_f32 v64, v76, v77                             // 0000000051FC: D2A20040 00029B4C
	v_cvt_pk_fp8_f32 v64, v78, v79 op_sel:[0,0,1]              // 000000005204: D2A24040 00029F4E
	v_cvt_pk_fp8_f32 v65, v80, v81                             // 00000000520C: D2A20041 0002A350
	v_cvt_pk_fp8_f32 v65, v82, v83 op_sel:[0,0,1]              // 000000005214: D2A24041 0002A752
	v_cvt_pk_fp8_f32 v66, v84, v85                             // 00000000521C: D2A20042 0002AB54
	v_cvt_pk_fp8_f32 v66, v86, v87 op_sel:[0,0,1]              // 000000005224: D2A24042 0002AF56
	v_cvt_pk_fp8_f32 v67, v88, v89                             // 00000000522C: D2A20043 0002B358
	v_cvt_pk_fp8_f32 v67, v90, v91 op_sel:[0,0,1]              // 000000005234: D2A24043 0002B75A
	v_cvt_pk_fp8_f32 v68, v92, v93                             // 00000000523C: D2A20044 0002BB5C
	v_cvt_pk_fp8_f32 v68, v94, v95 op_sel:[0,0,1]              // 000000005244: D2A24044 0002BF5E
	v_cvt_pk_fp8_f32 v69, v96, v97                             // 00000000524C: D2A20045 0002C360
	v_cvt_pk_fp8_f32 v69, v98, v99 op_sel:[0,0,1]              // 000000005254: D2A24045 0002C762
	v_cvt_pk_fp8_f32 v70, v100, v101                           // 00000000525C: D2A20046 0002CB64
	v_cvt_pk_fp8_f32 v70, v102, v103 op_sel:[0,0,1]            // 000000005264: D2A24046 0002CF66
	v_cvt_pk_fp8_f32 v71, v104, v105                           // 00000000526C: D2A20047 0002D368
	v_cvt_pk_fp8_f32 v71, v106, v107 op_sel:[0,0,1]            // 000000005274: D2A24047 0002D76A
	v_cvt_pk_fp8_f32 v72, v108, v109                           // 00000000527C: D2A20048 0002DB6C
	v_cvt_pk_fp8_f32 v72, v110, v111 op_sel:[0,0,1]            // 000000005284: D2A24048 0002DF6E
	v_cvt_pk_fp8_f32 v73, v112, v113                           // 00000000528C: D2A20049 0002E370
	v_cvt_pk_fp8_f32 v73, v114, v115 op_sel:[0,0,1]            // 000000005294: D2A24049 0002E772
	v_cvt_pk_fp8_f32 v74, v116, v117                           // 00000000529C: D2A2004A 0002EB74
	v_cvt_pk_fp8_f32 v74, v118, v119 op_sel:[0,0,1]            // 0000000052A4: D2A2404A 0002EF76
	v_cvt_pk_fp8_f32 v75, v120, v121                           // 0000000052AC: D2A2004B 0002F378
	v_cvt_pk_fp8_f32 v75, v122, v123 op_sel:[0,0,1]            // 0000000052B4: D2A2404B 0002F77A
	s_barrier                                                  // 0000000052BC: BF8A0000
	s_waitcnt lgkmcnt(8)                                       // 0000000052C0: BF8CC87F
	s_setprio 1                                                // 0000000052C4: BF8F0001
	s_barrier                                                  // 0000000052C8: BF8A0000
	v_mfma_f32_32x32x64_f8f6f4 v[124:139], v[28:35], v[60:67], v[124:139]// 0000000052CC: D3AE007C 05F2791C
	ds_read_b64_tr_b8 v[52:53], v227 offset:24992              // 0000000052D4: D9C461A0 340000E3
	ds_read_b64_tr_b8 v[54:55], v227 offset:25248              // 0000000052DC: D9C462A0 360000E3
	ds_read_b64_tr_b8 v[56:57], v227 offset:25504              // 0000000052E4: D9C463A0 380000E3
	ds_read_b64_tr_b8 v[58:59], v227 offset:25760              // 0000000052EC: D9C464A0 3A0000E3
	s_waitcnt lgkmcnt(8)                                       // 0000000052F4: BF8CC87F
	v_mfma_f32_32x32x64_f8f6f4 v[124:139], v[36:43], v[68:75], v[124:139]// 0000000052F8: D3AE007C 05F28924
	ds_read_b64_tr_b8 v[28:29], v227 offset:16704              // 000000005300: D9C44140 1C0000E3
	ds_read_b64_tr_b8 v[30:31], v227 offset:16960              // 000000005308: D9C44240 1E0000E3
	ds_read_b64_tr_b8 v[32:33], v227 offset:17216              // 000000005310: D9C44340 200000E3
	ds_read_b64_tr_b8 v[34:35], v227 offset:17472              // 000000005318: D9C44440 220000E3
	s_waitcnt lgkmcnt(8)                                       // 000000005320: BF8CC87F
	v_mfma_f32_32x32x64_f8f6f4 v[140:155], v[44:51], v[60:67], v[140:155]// 000000005324: D3AE008C 0632792C
	ds_read_b64_tr_b8 v[36:37], v227 offset:25024              // 00000000532C: D9C461C0 240000E3
	ds_read_b64_tr_b8 v[38:39], v227 offset:25280              // 000000005334: D9C462C0 260000E3
	ds_read_b64_tr_b8 v[40:41], v227 offset:25536              // 00000000533C: D9C463C0 280000E3
	ds_read_b64_tr_b8 v[42:43], v227 offset:25792              // 000000005344: D9C464C0 2A0000E3
	s_waitcnt lgkmcnt(8)                                       // 00000000534C: BF8CC87F
	v_mfma_f32_32x32x64_f8f6f4 v[140:155], v[52:59], v[68:75], v[140:155]// 000000005350: D3AE008C 06328934
	ds_read_b64_tr_b8 v[44:45], v227 offset:16736              // 000000005358: D9C44160 2C0000E3
	ds_read_b64_tr_b8 v[46:47], v227 offset:16992              // 000000005360: D9C44260 2E0000E3
	ds_read_b64_tr_b8 v[48:49], v227 offset:17248              // 000000005368: D9C44360 300000E3
	ds_read_b64_tr_b8 v[50:51], v227 offset:17504              // 000000005370: D9C44460 320000E3
	s_waitcnt lgkmcnt(8)                                       // 000000005378: BF8CC87F
	v_mfma_f32_32x32x64_f8f6f4 v[156:171], v[28:35], v[60:67], v[156:171]// 00000000537C: D3AE009C 0672791C
	ds_read_b64_tr_b8 v[52:53], v227 offset:25056              // 000000005384: D9C461E0 340000E3
	ds_read_b64_tr_b8 v[54:55], v227 offset:25312              // 00000000538C: D9C462E0 360000E3
	ds_read_b64_tr_b8 v[56:57], v227 offset:25568              // 000000005394: D9C463E0 380000E3
	ds_read_b64_tr_b8 v[58:59], v227 offset:25824              // 00000000539C: D9C464E0 3A0000E3
	s_waitcnt lgkmcnt(8)                                       // 0000000053A4: BF8CC87F
	v_mfma_f32_32x32x64_f8f6f4 v[156:171], v[36:43], v[68:75], v[156:171]// 0000000053A8: D3AE009C 06728924
	ds_read_b128 v[28:31], v226                                // 0000000053B0: D9FE0000 1C0000E2
	ds_read_b128 v[32:35], v226 offset:32                      // 0000000053B8: D9FE0020 200000E2
	s_waitcnt lgkmcnt(6)                                       // 0000000053C0: BF8CC67F
	v_mfma_f32_32x32x64_f8f6f4 v[172:187], v[44:51], v[60:67], v[172:187]// 0000000053C4: D3AE00AC 06B2792C
	ds_read_b128 v[36:39], v226 offset:4160                    // 0000000053CC: D9FE1040 240000E2
	ds_read_b128 v[40:43], v226 offset:4192                    // 0000000053D4: D9FE1060 280000E2
	s_waitcnt lgkmcnt(4)                                       // 0000000053DC: BF8CC47F
	v_mfma_f32_32x32x64_f8f6f4 v[172:187], v[52:59], v[68:75], v[172:187]// 0000000053E0: D3AE00AC 06B28934
	ds_read_b128 v[44:47], v226 offset:8320                    // 0000000053E8: D9FE2080 2C0000E2
	ds_read_b128 v[48:51], v226 offset:8352                    // 0000000053F0: D9FE20A0 300000E2
	s_addk_i32 s72, 0x80                                       // 0000000053F8: B7480080
	s_branch label_0725                                        // 0000000053FC: BF82FB25

0000000000005400 <label_0C00>:
	s_cmp_lt_i32 s72, s89                                      // 000000005400: BF045948
	s_cbranch_scc0 label_1A39                                  // 000000005404: BF840E37
	s_waitcnt lgkmcnt(4)                                       // 000000005408: BF8CC47F
	v_mfma_f32_32x32x64_f8f6f4 v[60:75], v[28:35], v[4:11], 0  // 00000000540C: D3AE003C 0202091C
	v_mul_i32_i24_dpp v192, v188, v234 quad_perm:[2,2,2,2] row_mask:0xf bank_mask:0xf// 000000005414: 0D81D4FA FF00AABC
	v_mul_i32_i24_dpp v193, v188, v234 quad_perm:[3,3,3,3] row_mask:0xf bank_mask:0xf// 00000000541C: 0D83D4FA FF00FFBC
	v_add_u32_e32 v219, v218, v192                             // 000000005424: 69B781DA
	v_add_u32_e32 v220, v218, v193                             // 000000005428: 69B983DA
	ds_read_b128 v[52:55], v226 offset:512                     // 00000000542C: D9FE0200 340000E2
	ds_read_b128 v[56:59], v226 offset:544                     // 000000005434: D9FE0220 380000E2
	s_waitcnt lgkmcnt(4)                                       // 00000000543C: BF8CC47F
	v_mfma_f32_32x32x64_f8f6f4 v[60:75], v[36:43], v[12:19], v[60:75]// 000000005440: D3AE003C 04F21924
	s_add_u32 m0, s93, 0x6180                                  // 000000005448: 807CFF5D 00006180
	buffer_load_dwordx4 v219, s[8:11], 0 offen lds             // 000000005450: E05D1000 800200DB
	ds_read_b128 v[28:31], v226 offset:4672                    // 000000005458: D9FE1240 1C0000E2
	ds_read_b128 v[32:35], v226 offset:4704                    // 000000005460: D9FE1260 200000E2
	s_waitcnt lgkmcnt(4)                                       // 000000005468: BF8CC47F
	v_mfma_f32_32x32x64_f8f6f4 v[60:75], v[44:51], v[20:27], v[60:75]// 00000000546C: D3AE003C 04F2292C
	s_add_u32 m0, s93, 0x6590                                  // 000000005474: 807CFF5D 00006590
	buffer_load_dwordx4 v220, s[8:11], 0 offen lds             // 00000000547C: E05D1000 800200DC
	ds_read_b128 v[36:39], v226 offset:8832                    // 000000005484: D9FE2280 240000E2
	ds_read_b128 v[40:43], v226 offset:8864                    // 00000000548C: D9FE22A0 280000E2
	s_waitcnt lgkmcnt(4)                                       // 000000005494: BF8CC47F
	v_mfma_f32_32x32x64_f8f6f4 v[76:91], v[52:59], v[4:11], 0  // 000000005498: D3AE004C 02020934
	s_add_u32 m0, s93, 0x7180                                  // 0000000054A0: 807CFF5D 00007180
	buffer_load_dwordx4 v219, s[8:11], 0 offen offset:64 lds   // 0000000054A8: E05D1040 800200DB
	ds_read_b128 v[44:47], v226 offset:12480                   // 0000000054B0: D9FE30C0 2C0000E2
	ds_read_b128 v[48:51], v226 offset:12512                   // 0000000054B8: D9FE30E0 300000E2
	s_waitcnt lgkmcnt(4)                                       // 0000000054C0: BF8CC47F
	v_mfma_f32_32x32x64_f8f6f4 v[76:91], v[28:35], v[12:19], v[76:91]// 0000000054C4: D3AE004C 0532191C
	s_add_u32 m0, s93, 0x7590                                  // 0000000054CC: 807CFF5D 00007590
	buffer_load_dwordx4 v220, s[8:11], 0 offen offset:64 lds   // 0000000054D4: E05D1040 800200DC
	ds_read_b128 v[52:55], v226 offset:16640                   // 0000000054DC: D9FE4100 340000E2
	ds_read_b128 v[56:59], v226 offset:16672                   // 0000000054E4: D9FE4120 380000E2
	s_waitcnt lgkmcnt(4)                                       // 0000000054EC: BF8CC47F
	v_mfma_f32_32x32x64_f8f6f4 v[76:91], v[36:43], v[20:27], v[76:91]// 0000000054F0: D3AE004C 05322924
	s_add_u32 m0, s93, 0x8180                                  // 0000000054F8: 807CFF5D 00008180
	buffer_load_dwordx4 v219, s[8:11], 0 offen offset:128 lds  // 000000005500: E05D1080 800200DB
	ds_read_b128 v[28:31], v226 offset:20800                   // 000000005508: D9FE5140 1C0000E2
	ds_read_b128 v[32:35], v226 offset:20832                   // 000000005510: D9FE5160 200000E2
	s_waitcnt lgkmcnt(4)                                       // 000000005518: BF8CC47F
	v_mfma_f32_32x32x64_f8f6f4 v[92:107], v[44:51], v[4:11], 0 // 00000000551C: D3AE005C 0202092C
	s_add_u32 m0, s93, 0x8590                                  // 000000005524: 807CFF5D 00008590
	buffer_load_dwordx4 v220, s[8:11], 0 offen offset:128 lds  // 00000000552C: E05D1080 800200DC
	ds_read_b128 v[36:39], v226 offset:12992                   // 000000005534: D9FE32C0 240000E2
	ds_read_b128 v[40:43], v226 offset:13024                   // 00000000553C: D9FE32E0 280000E2
	s_waitcnt lgkmcnt(4)                                       // 000000005544: BF8CC47F
	v_mfma_f32_32x32x64_f8f6f4 v[92:107], v[52:59], v[12:19], v[92:107]// 000000005548: D3AE005C 05721934
	buffer_load_dword v188, v215, s[44:47], 0 offen            // 000000005550: E0501000 800BBCD7
	v_add_u32_e32 v215, 0x400, v215                            // 000000005558: 69AFAEFF 00000400
	ds_read_b128 v[44:47], v226 offset:17152                   // 000000005560: D9FE4300 2C0000E2
	ds_read_b128 v[48:51], v226 offset:17184                   // 000000005568: D9FE4320 300000E2
	s_waitcnt lgkmcnt(4)                                       // 000000005570: BF8CC47F
	v_mfma_f32_32x32x64_f8f6f4 v[92:107], v[28:35], v[20:27], v[92:107]// 000000005574: D3AE005C 0572291C
	ds_read_b128 v[52:55], v226 offset:21312                   // 00000000557C: D9FE5340 340000E2
	ds_read_b128 v[56:59], v226 offset:21344                   // 000000005584: D9FE5360 380000E2
	s_waitcnt lgkmcnt(4)                                       // 00000000558C: BF8CC47F
	v_mfma_f32_32x32x64_f8f6f4 v[108:123], v[36:43], v[4:11], 0// 000000005590: D3AE006C 02020924
	s_barrier                                                  // 000000005598: BF8A0000
	ds_read_b64_tr_b8 v[28:29], v227                           // 00000000559C: D9C40000 1C0000E3
	ds_read_b64_tr_b8 v[30:31], v227 offset:256                // 0000000055A4: D9C40100 1E0000E3
	ds_read_b64_tr_b8 v[32:33], v227 offset:512                // 0000000055AC: D9C40200 200000E3
	ds_read_b64_tr_b8 v[34:35], v227 offset:768                // 0000000055B4: D9C40300 220000E3
	s_waitcnt lgkmcnt(6)                                       // 0000000055BC: BF8CC67F
	v_mfma_f32_32x32x64_f8f6f4 v[108:123], v[44:51], v[12:19], v[108:123]// 0000000055C0: D3AE006C 05B2192C
	ds_read_b64_tr_b8 v[36:37], v227 offset:8320               // 0000000055C8: D9C42080 240000E3
	ds_read_b64_tr_b8 v[38:39], v227 offset:8576               // 0000000055D0: D9C42180 260000E3
	ds_read_b64_tr_b8 v[40:41], v227 offset:8832               // 0000000055D8: D9C42280 280000E3
	ds_read_b64_tr_b8 v[42:43], v227 offset:9088               // 0000000055E0: D9C42380 2A0000E3
	s_waitcnt lgkmcnt(8)                                       // 0000000055E8: BF8CC87F
	v_mfma_f32_32x32x64_f8f6f4 v[108:123], v[52:59], v[20:27], v[108:123]// 0000000055EC: D3AE006C 05B22934
	ds_read_b64_tr_b8 v[44:45], v227 offset:32                 // 0000000055F4: D9C40020 2C0000E3
	ds_read_b64_tr_b8 v[46:47], v227 offset:288                // 0000000055FC: D9C40120 2E0000E3
	ds_read_b64_tr_b8 v[48:49], v227 offset:544                // 000000005604: D9C40220 300000E3
	ds_read_b64_tr_b8 v[50:51], v227 offset:800                // 00000000560C: D9C40320 320000E3
	s_nop 5                                                    // 000000005614: BF800005
	s_barrier                                                  // 000000005618: BF8A0000
	s_setprio 0                                                // 00000000561C: BF8F0000
	s_barrier                                                  // 000000005620: BF8A0000
	v_add_u32_e32 v192, s72, v203                              // 000000005624: 69819648
	v_add_u32_e32 v193, 0, v192                                // 000000005628: 69838080
	v_cmp_lt_i32_e32 vcc, v193, v202                           // 00000000562C: 7D8395C1
	s_nop 0                                                    // 000000005630: BF800000
	v_cndmask_b32_e32 v60, v205, v60, vcc                      // 000000005634: 007879CD
	v_add_u32_e32 v193, 1, v192                                // 000000005638: 69838081
	v_cmp_lt_i32_e32 vcc, v193, v202                           // 00000000563C: 7D8395C1
	s_nop 0                                                    // 000000005640: BF800000
	v_cndmask_b32_e32 v61, v205, v61, vcc                      // 000000005644: 007A7BCD
	v_add_u32_e32 v193, 2, v192                                // 000000005648: 69838082
	v_cmp_lt_i32_e32 vcc, v193, v202                           // 00000000564C: 7D8395C1
	s_nop 0                                                    // 000000005650: BF800000
	v_cndmask_b32_e32 v62, v205, v62, vcc                      // 000000005654: 007C7DCD
	v_add_u32_e32 v193, 3, v192                                // 000000005658: 69838083
	v_cmp_lt_i32_e32 vcc, v193, v202                           // 00000000565C: 7D8395C1
	s_nop 0                                                    // 000000005660: BF800000
	v_cndmask_b32_e32 v63, v205, v63, vcc                      // 000000005664: 007E7FCD
	v_add_u32_e32 v193, 8, v192                                // 000000005668: 69838088
	v_cmp_lt_i32_e32 vcc, v193, v202                           // 00000000566C: 7D8395C1
	s_nop 0                                                    // 000000005670: BF800000
	v_cndmask_b32_e32 v64, v205, v64, vcc                      // 000000005674: 008081CD
	v_add_u32_e32 v193, 9, v192                                // 000000005678: 69838089
	v_cmp_lt_i32_e32 vcc, v193, v202                           // 00000000567C: 7D8395C1
	s_nop 0                                                    // 000000005680: BF800000
	v_cndmask_b32_e32 v65, v205, v65, vcc                      // 000000005684: 008283CD
	v_add_u32_e32 v193, 10, v192                               // 000000005688: 6983808A
	v_cmp_lt_i32_e32 vcc, v193, v202                           // 00000000568C: 7D8395C1
	s_nop 0                                                    // 000000005690: BF800000
	v_cndmask_b32_e32 v66, v205, v66, vcc                      // 000000005694: 008485CD
	v_add_u32_e32 v193, 11, v192                               // 000000005698: 6983808B
	v_cmp_lt_i32_e32 vcc, v193, v202                           // 00000000569C: 7D8395C1
	s_nop 0                                                    // 0000000056A0: BF800000
	v_cndmask_b32_e32 v67, v205, v67, vcc                      // 0000000056A4: 008687CD
	v_add_u32_e32 v193, 16, v192                               // 0000000056A8: 69838090
	v_cmp_lt_i32_e32 vcc, v193, v202                           // 0000000056AC: 7D8395C1
	s_nop 0                                                    // 0000000056B0: BF800000
	v_cndmask_b32_e32 v68, v205, v68, vcc                      // 0000000056B4: 008889CD
	v_add_u32_e32 v193, 17, v192                               // 0000000056B8: 69838091
	v_cmp_lt_i32_e32 vcc, v193, v202                           // 0000000056BC: 7D8395C1
	s_nop 0                                                    // 0000000056C0: BF800000
	v_cndmask_b32_e32 v69, v205, v69, vcc                      // 0000000056C4: 008A8BCD
	v_add_u32_e32 v193, 18, v192                               // 0000000056C8: 69838092
	v_cmp_lt_i32_e32 vcc, v193, v202                           // 0000000056CC: 7D8395C1
	s_nop 0                                                    // 0000000056D0: BF800000
	v_cndmask_b32_e32 v70, v205, v70, vcc                      // 0000000056D4: 008C8DCD
	v_add_u32_e32 v193, 19, v192                               // 0000000056D8: 69838093
	v_cmp_lt_i32_e32 vcc, v193, v202                           // 0000000056DC: 7D8395C1
	s_nop 0                                                    // 0000000056E0: BF800000
	v_cndmask_b32_e32 v71, v205, v71, vcc                      // 0000000056E4: 008E8FCD
	v_add_u32_e32 v193, 24, v192                               // 0000000056E8: 69838098
	v_cmp_lt_i32_e32 vcc, v193, v202                           // 0000000056EC: 7D8395C1
	s_nop 0                                                    // 0000000056F0: BF800000
	v_cndmask_b32_e32 v72, v205, v72, vcc                      // 0000000056F4: 009091CD
	v_add_u32_e32 v193, 25, v192                               // 0000000056F8: 69838099
	v_cmp_lt_i32_e32 vcc, v193, v202                           // 0000000056FC: 7D8395C1
	s_nop 0                                                    // 000000005700: BF800000
	v_cndmask_b32_e32 v73, v205, v73, vcc                      // 000000005704: 009293CD
	v_add_u32_e32 v193, 26, v192                               // 000000005708: 6983809A
	v_cmp_lt_i32_e32 vcc, v193, v202                           // 00000000570C: 7D8395C1
	s_nop 0                                                    // 000000005710: BF800000
	v_cndmask_b32_e32 v74, v205, v74, vcc                      // 000000005714: 009495CD
	v_add_u32_e32 v193, 27, v192                               // 000000005718: 6983809B
	v_cmp_lt_i32_e32 vcc, v193, v202                           // 00000000571C: 7D8395C1
	s_nop 0                                                    // 000000005720: BF800000
	v_cndmask_b32_e32 v75, v205, v75, vcc                      // 000000005724: 009697CD
	v_add_u32_e32 v193, 32, v192                               // 000000005728: 698380A0
	v_cmp_lt_i32_e32 vcc, v193, v202                           // 00000000572C: 7D8395C1
	s_nop 0                                                    // 000000005730: BF800000
	v_cndmask_b32_e32 v76, v205, v76, vcc                      // 000000005734: 009899CD
	v_add_u32_e32 v193, 33, v192                               // 000000005738: 698380A1
	v_cmp_lt_i32_e32 vcc, v193, v202                           // 00000000573C: 7D8395C1
	s_nop 0                                                    // 000000005740: BF800000
	v_cndmask_b32_e32 v77, v205, v77, vcc                      // 000000005744: 009A9BCD
	v_add_u32_e32 v193, 34, v192                               // 000000005748: 698380A2
	v_cmp_lt_i32_e32 vcc, v193, v202                           // 00000000574C: 7D8395C1
	s_nop 0                                                    // 000000005750: BF800000
	v_cndmask_b32_e32 v78, v205, v78, vcc                      // 000000005754: 009C9DCD
	v_add_u32_e32 v193, 35, v192                               // 000000005758: 698380A3
	v_cmp_lt_i32_e32 vcc, v193, v202                           // 00000000575C: 7D8395C1
	s_nop 0                                                    // 000000005760: BF800000
	v_cndmask_b32_e32 v79, v205, v79, vcc                      // 000000005764: 009E9FCD
	v_add_u32_e32 v193, 40, v192                               // 000000005768: 698380A8
	v_cmp_lt_i32_e32 vcc, v193, v202                           // 00000000576C: 7D8395C1
	s_nop 0                                                    // 000000005770: BF800000
	v_cndmask_b32_e32 v80, v205, v80, vcc                      // 000000005774: 00A0A1CD
	v_add_u32_e32 v193, 41, v192                               // 000000005778: 698380A9
	v_cmp_lt_i32_e32 vcc, v193, v202                           // 00000000577C: 7D8395C1
	s_nop 0                                                    // 000000005780: BF800000
	v_cndmask_b32_e32 v81, v205, v81, vcc                      // 000000005784: 00A2A3CD
	v_add_u32_e32 v193, 42, v192                               // 000000005788: 698380AA
	v_cmp_lt_i32_e32 vcc, v193, v202                           // 00000000578C: 7D8395C1
	s_nop 0                                                    // 000000005790: BF800000
	v_cndmask_b32_e32 v82, v205, v82, vcc                      // 000000005794: 00A4A5CD
	v_add_u32_e32 v193, 43, v192                               // 000000005798: 698380AB
	v_cmp_lt_i32_e32 vcc, v193, v202                           // 00000000579C: 7D8395C1
	s_nop 0                                                    // 0000000057A0: BF800000
	v_cndmask_b32_e32 v83, v205, v83, vcc                      // 0000000057A4: 00A6A7CD
	v_add_u32_e32 v193, 48, v192                               // 0000000057A8: 698380B0
	v_cmp_lt_i32_e32 vcc, v193, v202                           // 0000000057AC: 7D8395C1
	s_nop 0                                                    // 0000000057B0: BF800000
	v_cndmask_b32_e32 v84, v205, v84, vcc                      // 0000000057B4: 00A8A9CD
	v_add_u32_e32 v193, 49, v192                               // 0000000057B8: 698380B1
	v_cmp_lt_i32_e32 vcc, v193, v202                           // 0000000057BC: 7D8395C1
	s_nop 0                                                    // 0000000057C0: BF800000
	v_cndmask_b32_e32 v85, v205, v85, vcc                      // 0000000057C4: 00AAABCD
	v_add_u32_e32 v193, 50, v192                               // 0000000057C8: 698380B2
	v_cmp_lt_i32_e32 vcc, v193, v202                           // 0000000057CC: 7D8395C1
	s_nop 0                                                    // 0000000057D0: BF800000
	v_cndmask_b32_e32 v86, v205, v86, vcc                      // 0000000057D4: 00ACADCD
	v_add_u32_e32 v193, 51, v192                               // 0000000057D8: 698380B3
	v_cmp_lt_i32_e32 vcc, v193, v202                           // 0000000057DC: 7D8395C1
	s_nop 0                                                    // 0000000057E0: BF800000
	v_cndmask_b32_e32 v87, v205, v87, vcc                      // 0000000057E4: 00AEAFCD
	v_add_u32_e32 v193, 56, v192                               // 0000000057E8: 698380B8
	v_cmp_lt_i32_e32 vcc, v193, v202                           // 0000000057EC: 7D8395C1
	s_nop 0                                                    // 0000000057F0: BF800000
	v_cndmask_b32_e32 v88, v205, v88, vcc                      // 0000000057F4: 00B0B1CD
	v_add_u32_e32 v193, 57, v192                               // 0000000057F8: 698380B9
	v_cmp_lt_i32_e32 vcc, v193, v202                           // 0000000057FC: 7D8395C1
	s_nop 0                                                    // 000000005800: BF800000
	v_cndmask_b32_e32 v89, v205, v89, vcc                      // 000000005804: 00B2B3CD
	v_add_u32_e32 v193, 58, v192                               // 000000005808: 698380BA
	v_cmp_lt_i32_e32 vcc, v193, v202                           // 00000000580C: 7D8395C1
	s_nop 0                                                    // 000000005810: BF800000
	v_cndmask_b32_e32 v90, v205, v90, vcc                      // 000000005814: 00B4B5CD
	v_add_u32_e32 v193, 59, v192                               // 000000005818: 698380BB
	v_cmp_lt_i32_e32 vcc, v193, v202                           // 00000000581C: 7D8395C1
	s_nop 0                                                    // 000000005820: BF800000
	v_cndmask_b32_e32 v91, v205, v91, vcc                      // 000000005824: 00B6B7CD
	v_add_u32_e32 v193, 64, v192                               // 000000005828: 698380C0
	v_cmp_lt_i32_e32 vcc, v193, v202                           // 00000000582C: 7D8395C1
	s_nop 0                                                    // 000000005830: BF800000
	v_cndmask_b32_e32 v92, v205, v92, vcc                      // 000000005834: 00B8B9CD
	v_add_u32_e32 v193, 0x41, v192                             // 000000005838: 698380FF 00000041
	v_cmp_lt_i32_e32 vcc, v193, v202                           // 000000005840: 7D8395C1
	s_nop 0                                                    // 000000005844: BF800000
	v_cndmask_b32_e32 v93, v205, v93, vcc                      // 000000005848: 00BABBCD
	v_add_u32_e32 v193, 0x42, v192                             // 00000000584C: 698380FF 00000042
	v_cmp_lt_i32_e32 vcc, v193, v202                           // 000000005854: 7D8395C1
	s_nop 0                                                    // 000000005858: BF800000
	v_cndmask_b32_e32 v94, v205, v94, vcc                      // 00000000585C: 00BCBDCD
	v_add_u32_e32 v193, 0x43, v192                             // 000000005860: 698380FF 00000043
	v_cmp_lt_i32_e32 vcc, v193, v202                           // 000000005868: 7D8395C1
	s_nop 0                                                    // 00000000586C: BF800000
	v_cndmask_b32_e32 v95, v205, v95, vcc                      // 000000005870: 00BEBFCD
	v_add_u32_e32 v193, 0x48, v192                             // 000000005874: 698380FF 00000048
	v_cmp_lt_i32_e32 vcc, v193, v202                           // 00000000587C: 7D8395C1
	s_nop 0                                                    // 000000005880: BF800000
	v_cndmask_b32_e32 v96, v205, v96, vcc                      // 000000005884: 00C0C1CD
	v_add_u32_e32 v193, 0x49, v192                             // 000000005888: 698380FF 00000049
	v_cmp_lt_i32_e32 vcc, v193, v202                           // 000000005890: 7D8395C1
	s_nop 0                                                    // 000000005894: BF800000
	v_cndmask_b32_e32 v97, v205, v97, vcc                      // 000000005898: 00C2C3CD
	v_add_u32_e32 v193, 0x4a, v192                             // 00000000589C: 698380FF 0000004A
	v_cmp_lt_i32_e32 vcc, v193, v202                           // 0000000058A4: 7D8395C1
	s_nop 0                                                    // 0000000058A8: BF800000
	v_cndmask_b32_e32 v98, v205, v98, vcc                      // 0000000058AC: 00C4C5CD
	v_add_u32_e32 v193, 0x4b, v192                             // 0000000058B0: 698380FF 0000004B
	v_cmp_lt_i32_e32 vcc, v193, v202                           // 0000000058B8: 7D8395C1
	s_nop 0                                                    // 0000000058BC: BF800000
	v_cndmask_b32_e32 v99, v205, v99, vcc                      // 0000000058C0: 00C6C7CD
	v_add_u32_e32 v193, 0x50, v192                             // 0000000058C4: 698380FF 00000050
	v_cmp_lt_i32_e32 vcc, v193, v202                           // 0000000058CC: 7D8395C1
	s_nop 0                                                    // 0000000058D0: BF800000
	v_cndmask_b32_e32 v100, v205, v100, vcc                    // 0000000058D4: 00C8C9CD
	v_add_u32_e32 v193, 0x51, v192                             // 0000000058D8: 698380FF 00000051
	v_cmp_lt_i32_e32 vcc, v193, v202                           // 0000000058E0: 7D8395C1
	s_nop 0                                                    // 0000000058E4: BF800000
	v_cndmask_b32_e32 v101, v205, v101, vcc                    // 0000000058E8: 00CACBCD
	v_add_u32_e32 v193, 0x52, v192                             // 0000000058EC: 698380FF 00000052
	v_cmp_lt_i32_e32 vcc, v193, v202                           // 0000000058F4: 7D8395C1
	s_nop 0                                                    // 0000000058F8: BF800000
	v_cndmask_b32_e32 v102, v205, v102, vcc                    // 0000000058FC: 00CCCDCD
	v_add_u32_e32 v193, 0x53, v192                             // 000000005900: 698380FF 00000053
	v_cmp_lt_i32_e32 vcc, v193, v202                           // 000000005908: 7D8395C1
	s_nop 0                                                    // 00000000590C: BF800000
	v_cndmask_b32_e32 v103, v205, v103, vcc                    // 000000005910: 00CECFCD
	v_add_u32_e32 v193, 0x58, v192                             // 000000005914: 698380FF 00000058
	v_cmp_lt_i32_e32 vcc, v193, v202                           // 00000000591C: 7D8395C1
	s_nop 0                                                    // 000000005920: BF800000
	v_cndmask_b32_e32 v104, v205, v104, vcc                    // 000000005924: 00D0D1CD
	v_add_u32_e32 v193, 0x59, v192                             // 000000005928: 698380FF 00000059
	v_cmp_lt_i32_e32 vcc, v193, v202                           // 000000005930: 7D8395C1
	s_nop 0                                                    // 000000005934: BF800000
	v_cndmask_b32_e32 v105, v205, v105, vcc                    // 000000005938: 00D2D3CD
	v_add_u32_e32 v193, 0x5a, v192                             // 00000000593C: 698380FF 0000005A
	v_cmp_lt_i32_e32 vcc, v193, v202                           // 000000005944: 7D8395C1
	s_nop 0                                                    // 000000005948: BF800000
	v_cndmask_b32_e32 v106, v205, v106, vcc                    // 00000000594C: 00D4D5CD
	v_add_u32_e32 v193, 0x5b, v192                             // 000000005950: 698380FF 0000005B
	v_cmp_lt_i32_e32 vcc, v193, v202                           // 000000005958: 7D8395C1
	s_nop 0                                                    // 00000000595C: BF800000
	v_cndmask_b32_e32 v107, v205, v107, vcc                    // 000000005960: 00D6D7CD
	v_add_u32_e32 v193, 0x60, v192                             // 000000005964: 698380FF 00000060
	v_cmp_lt_i32_e32 vcc, v193, v202                           // 00000000596C: 7D8395C1
	s_nop 0                                                    // 000000005970: BF800000
	v_cndmask_b32_e32 v108, v205, v108, vcc                    // 000000005974: 00D8D9CD
	v_add_u32_e32 v193, 0x61, v192                             // 000000005978: 698380FF 00000061
	v_cmp_lt_i32_e32 vcc, v193, v202                           // 000000005980: 7D8395C1
	s_nop 0                                                    // 000000005984: BF800000
	v_cndmask_b32_e32 v109, v205, v109, vcc                    // 000000005988: 00DADBCD
	v_add_u32_e32 v193, 0x62, v192                             // 00000000598C: 698380FF 00000062
	v_cmp_lt_i32_e32 vcc, v193, v202                           // 000000005994: 7D8395C1
	s_nop 0                                                    // 000000005998: BF800000
	v_cndmask_b32_e32 v110, v205, v110, vcc                    // 00000000599C: 00DCDDCD
	v_add_u32_e32 v193, 0x63, v192                             // 0000000059A0: 698380FF 00000063
	v_cmp_lt_i32_e32 vcc, v193, v202                           // 0000000059A8: 7D8395C1
	s_nop 0                                                    // 0000000059AC: BF800000
	v_cndmask_b32_e32 v111, v205, v111, vcc                    // 0000000059B0: 00DEDFCD
	v_add_u32_e32 v193, 0x68, v192                             // 0000000059B4: 698380FF 00000068
	v_cmp_lt_i32_e32 vcc, v193, v202                           // 0000000059BC: 7D8395C1
	s_nop 0                                                    // 0000000059C0: BF800000
	v_cndmask_b32_e32 v112, v205, v112, vcc                    // 0000000059C4: 00E0E1CD
	v_add_u32_e32 v193, 0x69, v192                             // 0000000059C8: 698380FF 00000069
	v_cmp_lt_i32_e32 vcc, v193, v202                           // 0000000059D0: 7D8395C1
	s_nop 0                                                    // 0000000059D4: BF800000
	v_cndmask_b32_e32 v113, v205, v113, vcc                    // 0000000059D8: 00E2E3CD
	v_add_u32_e32 v193, 0x6a, v192                             // 0000000059DC: 698380FF 0000006A
	v_cmp_lt_i32_e32 vcc, v193, v202                           // 0000000059E4: 7D8395C1
	s_nop 0                                                    // 0000000059E8: BF800000
	v_cndmask_b32_e32 v114, v205, v114, vcc                    // 0000000059EC: 00E4E5CD
	v_add_u32_e32 v193, 0x6b, v192                             // 0000000059F0: 698380FF 0000006B
	v_cmp_lt_i32_e32 vcc, v193, v202                           // 0000000059F8: 7D8395C1
	s_nop 0                                                    // 0000000059FC: BF800000
	v_cndmask_b32_e32 v115, v205, v115, vcc                    // 000000005A00: 00E6E7CD
	v_add_u32_e32 v193, 0x70, v192                             // 000000005A04: 698380FF 00000070
	v_cmp_lt_i32_e32 vcc, v193, v202                           // 000000005A0C: 7D8395C1
	s_nop 0                                                    // 000000005A10: BF800000
	v_cndmask_b32_e32 v116, v205, v116, vcc                    // 000000005A14: 00E8E9CD
	v_add_u32_e32 v193, 0x71, v192                             // 000000005A18: 698380FF 00000071
	v_cmp_lt_i32_e32 vcc, v193, v202                           // 000000005A20: 7D8395C1
	s_nop 0                                                    // 000000005A24: BF800000
	v_cndmask_b32_e32 v117, v205, v117, vcc                    // 000000005A28: 00EAEBCD
	v_add_u32_e32 v193, 0x72, v192                             // 000000005A2C: 698380FF 00000072
	v_cmp_lt_i32_e32 vcc, v193, v202                           // 000000005A34: 7D8395C1
	s_nop 0                                                    // 000000005A38: BF800000
	v_cndmask_b32_e32 v118, v205, v118, vcc                    // 000000005A3C: 00ECEDCD
	v_add_u32_e32 v193, 0x73, v192                             // 000000005A40: 698380FF 00000073
	v_cmp_lt_i32_e32 vcc, v193, v202                           // 000000005A48: 7D8395C1
	s_nop 0                                                    // 000000005A4C: BF800000
	v_cndmask_b32_e32 v119, v205, v119, vcc                    // 000000005A50: 00EEEFCD
	v_add_u32_e32 v193, 0x78, v192                             // 000000005A54: 698380FF 00000078
	v_cmp_lt_i32_e32 vcc, v193, v202                           // 000000005A5C: 7D8395C1
	s_nop 0                                                    // 000000005A60: BF800000
	v_cndmask_b32_e32 v120, v205, v120, vcc                    // 000000005A64: 00F0F1CD
	v_add_u32_e32 v193, 0x79, v192                             // 000000005A68: 698380FF 00000079
	v_cmp_lt_i32_e32 vcc, v193, v202                           // 000000005A70: 7D8395C1
	s_nop 0                                                    // 000000005A74: BF800000
	v_cndmask_b32_e32 v121, v205, v121, vcc                    // 000000005A78: 00F2F3CD
	v_add_u32_e32 v193, 0x7a, v192                             // 000000005A7C: 698380FF 0000007A
	v_cmp_lt_i32_e32 vcc, v193, v202                           // 000000005A84: 7D8395C1
	s_nop 0                                                    // 000000005A88: BF800000
	v_cndmask_b32_e32 v122, v205, v122, vcc                    // 000000005A8C: 00F4F5CD
	v_add_u32_e32 v193, 0x7b, v192                             // 000000005A90: 698380FF 0000007B
	v_cmp_lt_i32_e32 vcc, v193, v202                           // 000000005A98: 7D8395C1
	s_nop 0                                                    // 000000005A9C: BF800000
	v_cndmask_b32_e32 v123, v205, v123, vcc                    // 000000005AA0: 00F6F7CD
	v_mov_b32_e32 v201, v200                                   // 000000005AA4: 7F9203C8
	v_max3_f32 v201, v60, v61, v201                            // 000000005AA8: D1D300C9 07267B3C
	v_max3_f32 v201, v62, v63, v201                            // 000000005AB0: D1D300C9 07267F3E
	v_max3_f32 v201, v64, v65, v201                            // 000000005AB8: D1D300C9 07268340
	v_max3_f32 v201, v66, v67, v201                            // 000000005AC0: D1D300C9 07268742
	v_max3_f32 v201, v68, v69, v201                            // 000000005AC8: D1D300C9 07268B44
	v_max3_f32 v201, v70, v71, v201                            // 000000005AD0: D1D300C9 07268F46
	v_max3_f32 v201, v72, v73, v201                            // 000000005AD8: D1D300C9 07269348
	v_max3_f32 v201, v74, v75, v201                            // 000000005AE0: D1D300C9 0726974A
	v_max3_f32 v201, v76, v77, v201                            // 000000005AE8: D1D300C9 07269B4C
	v_max3_f32 v201, v78, v79, v201                            // 000000005AF0: D1D300C9 07269F4E
	v_max3_f32 v201, v80, v81, v201                            // 000000005AF8: D1D300C9 0726A350
	v_max3_f32 v201, v82, v83, v201                            // 000000005B00: D1D300C9 0726A752
	v_max3_f32 v201, v84, v85, v201                            // 000000005B08: D1D300C9 0726AB54
	v_max3_f32 v201, v86, v87, v201                            // 000000005B10: D1D300C9 0726AF56
	v_max3_f32 v201, v88, v89, v201                            // 000000005B18: D1D300C9 0726B358
	v_max3_f32 v201, v90, v91, v201                            // 000000005B20: D1D300C9 0726B75A
	v_max3_f32 v201, v92, v93, v201                            // 000000005B28: D1D300C9 0726BB5C
	v_max3_f32 v201, v94, v95, v201                            // 000000005B30: D1D300C9 0726BF5E
	v_max3_f32 v201, v96, v97, v201                            // 000000005B38: D1D300C9 0726C360
	v_max3_f32 v201, v98, v99, v201                            // 000000005B40: D1D300C9 0726C762
	v_max3_f32 v201, v100, v101, v201                          // 000000005B48: D1D300C9 0726CB64
	v_max3_f32 v201, v102, v103, v201                          // 000000005B50: D1D300C9 0726CF66
	v_max3_f32 v201, v104, v105, v201                          // 000000005B58: D1D300C9 0726D368
	v_max3_f32 v201, v106, v107, v201                          // 000000005B60: D1D300C9 0726D76A
	v_max3_f32 v201, v108, v109, v201                          // 000000005B68: D1D300C9 0726DB6C
	v_max3_f32 v201, v110, v111, v201                          // 000000005B70: D1D300C9 0726DF6E
	v_max3_f32 v201, v112, v113, v201                          // 000000005B78: D1D300C9 0726E370
	v_max3_f32 v201, v114, v115, v201                          // 000000005B80: D1D300C9 0726E772
	v_max3_f32 v201, v116, v117, v201                          // 000000005B88: D1D300C9 0726EB74
	v_max3_f32 v201, v118, v119, v201                          // 000000005B90: D1D300C9 0726EF76
	v_max3_f32 v201, v120, v121, v201                          // 000000005B98: D1D300C9 0726F378
	v_max3_f32 v201, v122, v123, v201                          // 000000005BA0: D1D300C9 0726F77A
	v_mov_b32_e32 v192, v201                                   // 000000005BA8: 7F8003C9
	s_nop 1                                                    // 000000005BAC: BF800001
	s_nop 0                                                    // 000000005BB0: BF800000
	v_permlane32_swap_b32_e32 v192, v201                       // 000000005BB4: 7F80B5C9
	v_max_f32_e32 v201, v201, v192                             // 000000005BB8: 179381C9
	v_mul_f32_e64 v192, -s54, v201                             // 000000005BBC: D10500C0 20039236
	v_mov_b32_e32 v193, v192                                   // 000000005BC4: 7F8203C0
	v_pk_fma_f32 v[60:61], v[60:61], s[54:55], v[192:193]      // 000000005BC8: D3B0403C 1F006D3C
	v_pk_fma_f32 v[62:63], v[62:63], s[54:55], v[192:193]      // 000000005BD0: D3B0403E 1F006D3E
	v_pk_fma_f32 v[64:65], v[64:65], s[54:55], v[192:193]      // 000000005BD8: D3B04040 1F006D40
	v_pk_fma_f32 v[66:67], v[66:67], s[54:55], v[192:193]      // 000000005BE0: D3B04042 1F006D42
	v_pk_fma_f32 v[68:69], v[68:69], s[54:55], v[192:193]      // 000000005BE8: D3B04044 1F006D44
	v_pk_fma_f32 v[70:71], v[70:71], s[54:55], v[192:193]      // 000000005BF0: D3B04046 1F006D46
	v_pk_fma_f32 v[72:73], v[72:73], s[54:55], v[192:193]      // 000000005BF8: D3B04048 1F006D48
	v_pk_fma_f32 v[74:75], v[74:75], s[54:55], v[192:193]      // 000000005C00: D3B0404A 1F006D4A
	v_pk_fma_f32 v[76:77], v[76:77], s[54:55], v[192:193]      // 000000005C08: D3B0404C 1F006D4C
	v_pk_fma_f32 v[78:79], v[78:79], s[54:55], v[192:193]      // 000000005C10: D3B0404E 1F006D4E
	v_pk_fma_f32 v[80:81], v[80:81], s[54:55], v[192:193]      // 000000005C18: D3B04050 1F006D50
	v_pk_fma_f32 v[82:83], v[82:83], s[54:55], v[192:193]      // 000000005C20: D3B04052 1F006D52
	v_pk_fma_f32 v[84:85], v[84:85], s[54:55], v[192:193]      // 000000005C28: D3B04054 1F006D54
	v_pk_fma_f32 v[86:87], v[86:87], s[54:55], v[192:193]      // 000000005C30: D3B04056 1F006D56
	v_pk_fma_f32 v[88:89], v[88:89], s[54:55], v[192:193]      // 000000005C38: D3B04058 1F006D58
	v_pk_fma_f32 v[90:91], v[90:91], s[54:55], v[192:193]      // 000000005C40: D3B0405A 1F006D5A
	v_pk_fma_f32 v[92:93], v[92:93], s[54:55], v[192:193]      // 000000005C48: D3B0405C 1F006D5C
	v_pk_fma_f32 v[94:95], v[94:95], s[54:55], v[192:193]      // 000000005C50: D3B0405E 1F006D5E
	v_pk_fma_f32 v[96:97], v[96:97], s[54:55], v[192:193]      // 000000005C58: D3B04060 1F006D60
	v_pk_fma_f32 v[98:99], v[98:99], s[54:55], v[192:193]      // 000000005C60: D3B04062 1F006D62
	v_pk_fma_f32 v[100:101], v[100:101], s[54:55], v[192:193]  // 000000005C68: D3B04064 1F006D64
	v_pk_fma_f32 v[102:103], v[102:103], s[54:55], v[192:193]  // 000000005C70: D3B04066 1F006D66
	v_pk_fma_f32 v[104:105], v[104:105], s[54:55], v[192:193]  // 000000005C78: D3B04068 1F006D68
	v_pk_fma_f32 v[106:107], v[106:107], s[54:55], v[192:193]  // 000000005C80: D3B0406A 1F006D6A
	v_pk_fma_f32 v[108:109], v[108:109], s[54:55], v[192:193]  // 000000005C88: D3B0406C 1F006D6C
	v_pk_fma_f32 v[110:111], v[110:111], s[54:55], v[192:193]  // 000000005C90: D3B0406E 1F006D6E
	v_pk_fma_f32 v[112:113], v[112:113], s[54:55], v[192:193]  // 000000005C98: D3B04070 1F006D70
	v_pk_fma_f32 v[114:115], v[114:115], s[54:55], v[192:193]  // 000000005CA0: D3B04072 1F006D72
	v_pk_fma_f32 v[116:117], v[116:117], s[54:55], v[192:193]  // 000000005CA8: D3B04074 1F006D74
	v_pk_fma_f32 v[118:119], v[118:119], s[54:55], v[192:193]  // 000000005CB0: D3B04076 1F006D76
	v_pk_fma_f32 v[120:121], v[120:121], s[54:55], v[192:193]  // 000000005CB8: D3B04078 1F006D78
	v_pk_fma_f32 v[122:123], v[122:123], s[54:55], v[192:193]  // 000000005CC0: D3B0407A 1F006D7A
	s_barrier                                                  // 000000005CC8: BF8A0000
	v_exp_f32_e32 v60, v60                                     // 000000005CCC: 7E78413C
	v_exp_f32_e32 v61, v61                                     // 000000005CD0: 7E7A413D
	v_exp_f32_e32 v62, v62                                     // 000000005CD4: 7E7C413E
	v_exp_f32_e32 v63, v63                                     // 000000005CD8: 7E7E413F
	v_exp_f32_e32 v64, v64                                     // 000000005CDC: 7E804140
	v_exp_f32_e32 v65, v65                                     // 000000005CE0: 7E824141
	v_exp_f32_e32 v66, v66                                     // 000000005CE4: 7E844142
	v_exp_f32_e32 v67, v67                                     // 000000005CE8: 7E864143
	v_exp_f32_e32 v68, v68                                     // 000000005CEC: 7E884144
	v_exp_f32_e32 v69, v69                                     // 000000005CF0: 7E8A4145
	v_exp_f32_e32 v70, v70                                     // 000000005CF4: 7E8C4146
	v_exp_f32_e32 v71, v71                                     // 000000005CF8: 7E8E4147
	v_exp_f32_e32 v72, v72                                     // 000000005CFC: 7E904148
	v_exp_f32_e32 v73, v73                                     // 000000005D00: 7E924149
	v_exp_f32_e32 v74, v74                                     // 000000005D04: 7E94414A
	v_exp_f32_e32 v75, v75                                     // 000000005D08: 7E96414B
	v_exp_f32_e32 v76, v76                                     // 000000005D0C: 7E98414C
	v_exp_f32_e32 v77, v77                                     // 000000005D10: 7E9A414D
	v_exp_f32_e32 v78, v78                                     // 000000005D14: 7E9C414E
	v_exp_f32_e32 v79, v79                                     // 000000005D18: 7E9E414F
	v_exp_f32_e32 v80, v80                                     // 000000005D1C: 7EA04150
	v_exp_f32_e32 v81, v81                                     // 000000005D20: 7EA24151
	v_exp_f32_e32 v82, v82                                     // 000000005D24: 7EA44152
	v_exp_f32_e32 v83, v83                                     // 000000005D28: 7EA64153
	v_exp_f32_e32 v84, v84                                     // 000000005D2C: 7EA84154
	v_exp_f32_e32 v85, v85                                     // 000000005D30: 7EAA4155
	v_exp_f32_e32 v86, v86                                     // 000000005D34: 7EAC4156
	v_exp_f32_e32 v87, v87                                     // 000000005D38: 7EAE4157
	v_exp_f32_e32 v88, v88                                     // 000000005D3C: 7EB04158
	v_exp_f32_e32 v89, v89                                     // 000000005D40: 7EB24159
	v_exp_f32_e32 v90, v90                                     // 000000005D44: 7EB4415A
	v_exp_f32_e32 v91, v91                                     // 000000005D48: 7EB6415B
	v_exp_f32_e32 v92, v92                                     // 000000005D4C: 7EB8415C
	v_exp_f32_e32 v93, v93                                     // 000000005D50: 7EBA415D
	v_exp_f32_e32 v94, v94                                     // 000000005D54: 7EBC415E
	v_exp_f32_e32 v95, v95                                     // 000000005D58: 7EBE415F
	v_exp_f32_e32 v96, v96                                     // 000000005D5C: 7EC04160
	v_exp_f32_e32 v97, v97                                     // 000000005D60: 7EC24161
	v_exp_f32_e32 v98, v98                                     // 000000005D64: 7EC44162
	v_exp_f32_e32 v99, v99                                     // 000000005D68: 7EC64163
	v_exp_f32_e32 v100, v100                                   // 000000005D6C: 7EC84164
	v_exp_f32_e32 v101, v101                                   // 000000005D70: 7ECA4165
	v_exp_f32_e32 v102, v102                                   // 000000005D74: 7ECC4166
	v_exp_f32_e32 v103, v103                                   // 000000005D78: 7ECE4167
	v_exp_f32_e32 v104, v104                                   // 000000005D7C: 7ED04168
	v_exp_f32_e32 v105, v105                                   // 000000005D80: 7ED24169
	v_exp_f32_e32 v106, v106                                   // 000000005D84: 7ED4416A
	v_exp_f32_e32 v107, v107                                   // 000000005D88: 7ED6416B
	v_exp_f32_e32 v108, v108                                   // 000000005D8C: 7ED8416C
	v_exp_f32_e32 v109, v109                                   // 000000005D90: 7EDA416D
	v_exp_f32_e32 v110, v110                                   // 000000005D94: 7EDC416E
	v_exp_f32_e32 v111, v111                                   // 000000005D98: 7EDE416F
	v_exp_f32_e32 v112, v112                                   // 000000005D9C: 7EE04170
	v_exp_f32_e32 v113, v113                                   // 000000005DA0: 7EE24171
	v_exp_f32_e32 v114, v114                                   // 000000005DA4: 7EE44172
	v_exp_f32_e32 v115, v115                                   // 000000005DA8: 7EE64173
	v_exp_f32_e32 v116, v116                                   // 000000005DAC: 7EE84174
	v_exp_f32_e32 v117, v117                                   // 000000005DB0: 7EEA4175
	v_exp_f32_e32 v118, v118                                   // 000000005DB4: 7EEC4176
	v_exp_f32_e32 v119, v119                                   // 000000005DB8: 7EEE4177
	v_exp_f32_e32 v120, v120                                   // 000000005DBC: 7EF04178
	v_exp_f32_e32 v121, v121                                   // 000000005DC0: 7EF24179
	v_exp_f32_e32 v122, v122                                   // 000000005DC4: 7EF4417A
	v_exp_f32_e32 v123, v123                                   // 000000005DC8: 7EF6417B
	v_sub_f32_e32 v196, v200, v201                             // 000000005DCC: 058993C8
	v_cmp_eq_u32_e64 s[64:65], v205, v200                      // 000000005DD0: D0CA0040 000391CD
	s_nop 0                                                    // 000000005DD8: BF800000
	v_cndmask_b32_e64 v196, v196, 0, s[64:65]                  // 000000005DDC: D10000C4 010101C4
	v_mov_b32_e32 v200, v201                                   // 000000005DE4: 7F9003C9
	v_mul_f32_e32 v196, s54, v196                              // 000000005DE8: 0B898836
	v_exp_f32_e32 v196, v196                                   // 000000005DEC: 7F8841C4
	s_nop 0                                                    // 000000005DF0: BF800000
	v_mul_f32_e32 v198, v196, v198                             // 000000005DF4: 0B8D8DC4
	v_add_f32_e32 v198, v60, v198                              // 000000005DF8: 038D8D3C
	v_add_f32_e32 v198, v61, v198                              // 000000005DFC: 038D8D3D
	v_add_f32_e32 v198, v62, v198                              // 000000005E00: 038D8D3E
	v_add_f32_e32 v198, v63, v198                              // 000000005E04: 038D8D3F
	v_add_f32_e32 v198, v64, v198                              // 000000005E08: 038D8D40
	v_add_f32_e32 v198, v65, v198                              // 000000005E0C: 038D8D41
	v_add_f32_e32 v198, v66, v198                              // 000000005E10: 038D8D42
	v_add_f32_e32 v198, v67, v198                              // 000000005E14: 038D8D43
	v_add_f32_e32 v198, v68, v198                              // 000000005E18: 038D8D44
	v_add_f32_e32 v198, v69, v198                              // 000000005E1C: 038D8D45
	v_add_f32_e32 v198, v70, v198                              // 000000005E20: 038D8D46
	v_add_f32_e32 v198, v71, v198                              // 000000005E24: 038D8D47
	v_add_f32_e32 v198, v72, v198                              // 000000005E28: 038D8D48
	v_add_f32_e32 v198, v73, v198                              // 000000005E2C: 038D8D49
	v_add_f32_e32 v198, v74, v198                              // 000000005E30: 038D8D4A
	v_add_f32_e32 v198, v75, v198                              // 000000005E34: 038D8D4B
	v_add_f32_e32 v198, v76, v198                              // 000000005E38: 038D8D4C
	v_add_f32_e32 v198, v77, v198                              // 000000005E3C: 038D8D4D
	v_add_f32_e32 v198, v78, v198                              // 000000005E40: 038D8D4E
	v_add_f32_e32 v198, v79, v198                              // 000000005E44: 038D8D4F
	v_add_f32_e32 v198, v80, v198                              // 000000005E48: 038D8D50
	v_add_f32_e32 v198, v81, v198                              // 000000005E4C: 038D8D51
	v_add_f32_e32 v198, v82, v198                              // 000000005E50: 038D8D52
	v_add_f32_e32 v198, v83, v198                              // 000000005E54: 038D8D53
	v_add_f32_e32 v198, v84, v198                              // 000000005E58: 038D8D54
	v_add_f32_e32 v198, v85, v198                              // 000000005E5C: 038D8D55
	v_add_f32_e32 v198, v86, v198                              // 000000005E60: 038D8D56
	v_add_f32_e32 v198, v87, v198                              // 000000005E64: 038D8D57
	v_add_f32_e32 v198, v88, v198                              // 000000005E68: 038D8D58
	v_add_f32_e32 v198, v89, v198                              // 000000005E6C: 038D8D59
	v_add_f32_e32 v198, v90, v198                              // 000000005E70: 038D8D5A
	v_add_f32_e32 v198, v91, v198                              // 000000005E74: 038D8D5B
	v_add_f32_e32 v198, v92, v198                              // 000000005E78: 038D8D5C
	v_add_f32_e32 v198, v93, v198                              // 000000005E7C: 038D8D5D
	v_add_f32_e32 v198, v94, v198                              // 000000005E80: 038D8D5E
	v_add_f32_e32 v198, v95, v198                              // 000000005E84: 038D8D5F
	v_add_f32_e32 v198, v96, v198                              // 000000005E88: 038D8D60
	v_add_f32_e32 v198, v97, v198                              // 000000005E8C: 038D8D61
	v_add_f32_e32 v198, v98, v198                              // 000000005E90: 038D8D62
	v_add_f32_e32 v198, v99, v198                              // 000000005E94: 038D8D63
	v_add_f32_e32 v198, v100, v198                             // 000000005E98: 038D8D64
	v_add_f32_e32 v198, v101, v198                             // 000000005E9C: 038D8D65
	v_add_f32_e32 v198, v102, v198                             // 000000005EA0: 038D8D66
	v_add_f32_e32 v198, v103, v198                             // 000000005EA4: 038D8D67
	v_add_f32_e32 v198, v104, v198                             // 000000005EA8: 038D8D68
	v_add_f32_e32 v198, v105, v198                             // 000000005EAC: 038D8D69
	v_add_f32_e32 v198, v106, v198                             // 000000005EB0: 038D8D6A
	v_add_f32_e32 v198, v107, v198                             // 000000005EB4: 038D8D6B
	v_add_f32_e32 v198, v108, v198                             // 000000005EB8: 038D8D6C
	v_add_f32_e32 v198, v109, v198                             // 000000005EBC: 038D8D6D
	v_add_f32_e32 v198, v110, v198                             // 000000005EC0: 038D8D6E
	v_add_f32_e32 v198, v111, v198                             // 000000005EC4: 038D8D6F
	v_add_f32_e32 v198, v112, v198                             // 000000005EC8: 038D8D70
	v_add_f32_e32 v198, v113, v198                             // 000000005ECC: 038D8D71
	v_add_f32_e32 v198, v114, v198                             // 000000005ED0: 038D8D72
	v_add_f32_e32 v198, v115, v198                             // 000000005ED4: 038D8D73
	v_add_f32_e32 v198, v116, v198                             // 000000005ED8: 038D8D74
	v_add_f32_e32 v198, v117, v198                             // 000000005EDC: 038D8D75
	v_add_f32_e32 v198, v118, v198                             // 000000005EE0: 038D8D76
	v_add_f32_e32 v198, v119, v198                             // 000000005EE4: 038D8D77
	v_add_f32_e32 v198, v120, v198                             // 000000005EE8: 038D8D78
	v_add_f32_e32 v198, v121, v198                             // 000000005EEC: 038D8D79
	v_add_f32_e32 v198, v122, v198                             // 000000005EF0: 038D8D7A
	v_add_f32_e32 v198, v123, v198                             // 000000005EF4: 038D8D7B
	v_mul_f32_e32 v124, v196, v124                             // 000000005EF8: 0AF8F9C4
	v_mul_f32_e32 v125, v196, v125                             // 000000005EFC: 0AFAFBC4
	v_mul_f32_e32 v126, v196, v126                             // 000000005F00: 0AFCFDC4
	v_mul_f32_e32 v127, v196, v127                             // 000000005F04: 0AFEFFC4
	v_mul_f32_e32 v128, v196, v128                             // 000000005F08: 0B0101C4
	v_mul_f32_e32 v129, v196, v129                             // 000000005F0C: 0B0303C4
	v_mul_f32_e32 v130, v196, v130                             // 000000005F10: 0B0505C4
	v_mul_f32_e32 v131, v196, v131                             // 000000005F14: 0B0707C4
	v_mul_f32_e32 v132, v196, v132                             // 000000005F18: 0B0909C4
	v_mul_f32_e32 v133, v196, v133                             // 000000005F1C: 0B0B0BC4
	v_mul_f32_e32 v134, v196, v134                             // 000000005F20: 0B0D0DC4
	v_mul_f32_e32 v135, v196, v135                             // 000000005F24: 0B0F0FC4
	v_mul_f32_e32 v136, v196, v136                             // 000000005F28: 0B1111C4
	v_mul_f32_e32 v137, v196, v137                             // 000000005F2C: 0B1313C4
	v_mul_f32_e32 v138, v196, v138                             // 000000005F30: 0B1515C4
	v_mul_f32_e32 v139, v196, v139                             // 000000005F34: 0B1717C4
	v_mul_f32_e32 v140, v196, v140                             // 000000005F38: 0B1919C4
	v_mul_f32_e32 v141, v196, v141                             // 000000005F3C: 0B1B1BC4
	v_mul_f32_e32 v142, v196, v142                             // 000000005F40: 0B1D1DC4
	v_mul_f32_e32 v143, v196, v143                             // 000000005F44: 0B1F1FC4
	v_mul_f32_e32 v144, v196, v144                             // 000000005F48: 0B2121C4
	v_mul_f32_e32 v145, v196, v145                             // 000000005F4C: 0B2323C4
	v_mul_f32_e32 v146, v196, v146                             // 000000005F50: 0B2525C4
	v_mul_f32_e32 v147, v196, v147                             // 000000005F54: 0B2727C4
	v_mul_f32_e32 v148, v196, v148                             // 000000005F58: 0B2929C4
	v_mul_f32_e32 v149, v196, v149                             // 000000005F5C: 0B2B2BC4
	v_mul_f32_e32 v150, v196, v150                             // 000000005F60: 0B2D2DC4
	v_mul_f32_e32 v151, v196, v151                             // 000000005F64: 0B2F2FC4
	v_mul_f32_e32 v152, v196, v152                             // 000000005F68: 0B3131C4
	v_mul_f32_e32 v153, v196, v153                             // 000000005F6C: 0B3333C4
	v_mul_f32_e32 v154, v196, v154                             // 000000005F70: 0B3535C4
	v_mul_f32_e32 v155, v196, v155                             // 000000005F74: 0B3737C4
	v_mul_f32_e32 v156, v196, v156                             // 000000005F78: 0B3939C4
	v_mul_f32_e32 v157, v196, v157                             // 000000005F7C: 0B3B3BC4
	v_mul_f32_e32 v158, v196, v158                             // 000000005F80: 0B3D3DC4
	v_mul_f32_e32 v159, v196, v159                             // 000000005F84: 0B3F3FC4
	v_mul_f32_e32 v160, v196, v160                             // 000000005F88: 0B4141C4
	v_mul_f32_e32 v161, v196, v161                             // 000000005F8C: 0B4343C4
	v_mul_f32_e32 v162, v196, v162                             // 000000005F90: 0B4545C4
	v_mul_f32_e32 v163, v196, v163                             // 000000005F94: 0B4747C4
	v_mul_f32_e32 v164, v196, v164                             // 000000005F98: 0B4949C4
	v_mul_f32_e32 v165, v196, v165                             // 000000005F9C: 0B4B4BC4
	v_mul_f32_e32 v166, v196, v166                             // 000000005FA0: 0B4D4DC4
	v_mul_f32_e32 v167, v196, v167                             // 000000005FA4: 0B4F4FC4
	v_mul_f32_e32 v168, v196, v168                             // 000000005FA8: 0B5151C4
	v_mul_f32_e32 v169, v196, v169                             // 000000005FAC: 0B5353C4
	v_mul_f32_e32 v170, v196, v170                             // 000000005FB0: 0B5555C4
	v_mul_f32_e32 v171, v196, v171                             // 000000005FB4: 0B5757C4
	v_mul_f32_e32 v172, v196, v172                             // 000000005FB8: 0B5959C4
	v_mul_f32_e32 v173, v196, v173                             // 000000005FBC: 0B5B5BC4
	v_mul_f32_e32 v174, v196, v174                             // 000000005FC0: 0B5D5DC4
	v_mul_f32_e32 v175, v196, v175                             // 000000005FC4: 0B5F5FC4
	v_mul_f32_e32 v176, v196, v176                             // 000000005FC8: 0B6161C4
	v_mul_f32_e32 v177, v196, v177                             // 000000005FCC: 0B6363C4
	v_mul_f32_e32 v178, v196, v178                             // 000000005FD0: 0B6565C4
	v_mul_f32_e32 v179, v196, v179                             // 000000005FD4: 0B6767C4
	v_mul_f32_e32 v180, v196, v180                             // 000000005FD8: 0B6969C4
	v_mul_f32_e32 v181, v196, v181                             // 000000005FDC: 0B6B6BC4
	v_mul_f32_e32 v182, v196, v182                             // 000000005FE0: 0B6D6DC4
	v_mul_f32_e32 v183, v196, v183                             // 000000005FE4: 0B6F6FC4
	v_mul_f32_e32 v184, v196, v184                             // 000000005FE8: 0B7171C4
	v_mul_f32_e32 v185, v196, v185                             // 000000005FEC: 0B7373C4
	v_mul_f32_e32 v186, v196, v186                             // 000000005FF0: 0B7575C4
	v_mul_f32_e32 v187, v196, v187                             // 000000005FF4: 0B7777C4
	v_mov_b32_e32 v197, v196                                   // 000000005FF8: 7F8A03C4
	s_barrier                                                  // 000000005FFC: BF8A0000
	v_cvt_pk_fp8_f32 v60, v60, v61                             // 000000006000: D2A2003C 00027B3C
	v_cvt_pk_fp8_f32 v60, v62, v63 op_sel:[0,0,1]              // 000000006008: D2A2403C 00027F3E
	v_cvt_pk_fp8_f32 v61, v64, v65                             // 000000006010: D2A2003D 00028340
	v_cvt_pk_fp8_f32 v61, v66, v67 op_sel:[0,0,1]              // 000000006018: D2A2403D 00028742
	v_cvt_pk_fp8_f32 v62, v68, v69                             // 000000006020: D2A2003E 00028B44
	v_cvt_pk_fp8_f32 v62, v70, v71 op_sel:[0,0,1]              // 000000006028: D2A2403E 00028F46
	v_cvt_pk_fp8_f32 v63, v72, v73                             // 000000006030: D2A2003F 00029348
	v_cvt_pk_fp8_f32 v63, v74, v75 op_sel:[0,0,1]              // 000000006038: D2A2403F 0002974A
	v_cvt_pk_fp8_f32 v64, v76, v77                             // 000000006040: D2A20040 00029B4C
	v_cvt_pk_fp8_f32 v64, v78, v79 op_sel:[0,0,1]              // 000000006048: D2A24040 00029F4E
	v_cvt_pk_fp8_f32 v65, v80, v81                             // 000000006050: D2A20041 0002A350
	v_cvt_pk_fp8_f32 v65, v82, v83 op_sel:[0,0,1]              // 000000006058: D2A24041 0002A752
	v_cvt_pk_fp8_f32 v66, v84, v85                             // 000000006060: D2A20042 0002AB54
	v_cvt_pk_fp8_f32 v66, v86, v87 op_sel:[0,0,1]              // 000000006068: D2A24042 0002AF56
	v_cvt_pk_fp8_f32 v67, v88, v89                             // 000000006070: D2A20043 0002B358
	v_cvt_pk_fp8_f32 v67, v90, v91 op_sel:[0,0,1]              // 000000006078: D2A24043 0002B75A
	v_cvt_pk_fp8_f32 v68, v92, v93                             // 000000006080: D2A20044 0002BB5C
	v_cvt_pk_fp8_f32 v68, v94, v95 op_sel:[0,0,1]              // 000000006088: D2A24044 0002BF5E
	v_cvt_pk_fp8_f32 v69, v96, v97                             // 000000006090: D2A20045 0002C360
	v_cvt_pk_fp8_f32 v69, v98, v99 op_sel:[0,0,1]              // 000000006098: D2A24045 0002C762
	v_cvt_pk_fp8_f32 v70, v100, v101                           // 0000000060A0: D2A20046 0002CB64
	v_cvt_pk_fp8_f32 v70, v102, v103 op_sel:[0,0,1]            // 0000000060A8: D2A24046 0002CF66
	v_cvt_pk_fp8_f32 v71, v104, v105                           // 0000000060B0: D2A20047 0002D368
	v_cvt_pk_fp8_f32 v71, v106, v107 op_sel:[0,0,1]            // 0000000060B8: D2A24047 0002D76A
	v_cvt_pk_fp8_f32 v72, v108, v109                           // 0000000060C0: D2A20048 0002DB6C
	v_cvt_pk_fp8_f32 v72, v110, v111 op_sel:[0,0,1]            // 0000000060C8: D2A24048 0002DF6E
	v_cvt_pk_fp8_f32 v73, v112, v113                           // 0000000060D0: D2A20049 0002E370
	v_cvt_pk_fp8_f32 v73, v114, v115 op_sel:[0,0,1]            // 0000000060D8: D2A24049 0002E772
	v_cvt_pk_fp8_f32 v74, v116, v117                           // 0000000060E0: D2A2004A 0002EB74
	v_cvt_pk_fp8_f32 v74, v118, v119 op_sel:[0,0,1]            // 0000000060E8: D2A2404A 0002EF76
	v_cvt_pk_fp8_f32 v75, v120, v121                           // 0000000060F0: D2A2004B 0002F378
	v_cvt_pk_fp8_f32 v75, v122, v123 op_sel:[0,0,1]            // 0000000060F8: D2A2404B 0002F77A
	s_barrier                                                  // 000000006100: BF8A0000
	s_waitcnt vmcnt(0)                                         // 000000006104: BF8C0F70
	s_waitcnt lgkmcnt(8)                                       // 000000006108: BF8CC87F
	s_setprio 1                                                // 00000000610C: BF8F0001
	s_barrier                                                  // 000000006110: BF8A0000
	v_mfma_f32_32x32x64_f8f6f4 v[124:139], v[28:35], v[60:67], v[124:139]// 000000006114: D3AE007C 05F2791C
	ds_read_b64_tr_b8 v[52:53], v227 offset:8352               // 00000000611C: D9C420A0 340000E3
	ds_read_b64_tr_b8 v[54:55], v227 offset:8608               // 000000006124: D9C421A0 360000E3
	ds_read_b64_tr_b8 v[56:57], v227 offset:8864               // 00000000612C: D9C422A0 380000E3
	ds_read_b64_tr_b8 v[58:59], v227 offset:9120               // 000000006134: D9C423A0 3A0000E3
	s_waitcnt lgkmcnt(8)                                       // 00000000613C: BF8CC87F
	v_mfma_f32_32x32x64_f8f6f4 v[124:139], v[36:43], v[68:75], v[124:139]// 000000006140: D3AE007C 05F28924
	ds_read_b64_tr_b8 v[28:29], v227 offset:64                 // 000000006148: D9C40040 1C0000E3
	ds_read_b64_tr_b8 v[30:31], v227 offset:320                // 000000006150: D9C40140 1E0000E3
	ds_read_b64_tr_b8 v[32:33], v227 offset:576                // 000000006158: D9C40240 200000E3
	ds_read_b64_tr_b8 v[34:35], v227 offset:832                // 000000006160: D9C40340 220000E3
	s_waitcnt lgkmcnt(8)                                       // 000000006168: BF8CC87F
	v_mfma_f32_32x32x64_f8f6f4 v[140:155], v[44:51], v[60:67], v[140:155]// 00000000616C: D3AE008C 0632792C
	ds_read_b64_tr_b8 v[36:37], v227 offset:8384               // 000000006174: D9C420C0 240000E3
	ds_read_b64_tr_b8 v[38:39], v227 offset:8640               // 00000000617C: D9C421C0 260000E3
	ds_read_b64_tr_b8 v[40:41], v227 offset:8896               // 000000006184: D9C422C0 280000E3
	ds_read_b64_tr_b8 v[42:43], v227 offset:9152               // 00000000618C: D9C423C0 2A0000E3
	s_waitcnt lgkmcnt(8)                                       // 000000006194: BF8CC87F
	v_mfma_f32_32x32x64_f8f6f4 v[140:155], v[52:59], v[68:75], v[140:155]// 000000006198: D3AE008C 06328934
	ds_read_b64_tr_b8 v[44:45], v227 offset:96                 // 0000000061A0: D9C40060 2C0000E3
	ds_read_b64_tr_b8 v[46:47], v227 offset:352                // 0000000061A8: D9C40160 2E0000E3
	ds_read_b64_tr_b8 v[48:49], v227 offset:608                // 0000000061B0: D9C40260 300000E3
	ds_read_b64_tr_b8 v[50:51], v227 offset:864                // 0000000061B8: D9C40360 320000E3
	s_waitcnt lgkmcnt(8)                                       // 0000000061C0: BF8CC87F
	v_mfma_f32_32x32x64_f8f6f4 v[156:171], v[28:35], v[60:67], v[156:171]// 0000000061C4: D3AE009C 0672791C
	ds_read_b64_tr_b8 v[52:53], v227 offset:8416               // 0000000061CC: D9C420E0 340000E3
	ds_read_b64_tr_b8 v[54:55], v227 offset:8672               // 0000000061D4: D9C421E0 360000E3
	ds_read_b64_tr_b8 v[56:57], v227 offset:8928               // 0000000061DC: D9C422E0 380000E3
	ds_read_b64_tr_b8 v[58:59], v227 offset:9184               // 0000000061E4: D9C423E0 3A0000E3
	s_waitcnt lgkmcnt(8)                                       // 0000000061EC: BF8CC87F
	v_mfma_f32_32x32x64_f8f6f4 v[156:171], v[36:43], v[68:75], v[156:171]// 0000000061F0: D3AE009C 06728924
	ds_read_b128 v[28:31], v226 offset:24960                   // 0000000061F8: D9FE6180 1C0000E2
	ds_read_b128 v[32:35], v226 offset:24992                   // 000000006200: D9FE61A0 200000E2
	s_waitcnt lgkmcnt(6)                                       // 000000006208: BF8CC67F
	v_mfma_f32_32x32x64_f8f6f4 v[172:187], v[44:51], v[60:67], v[172:187]// 00000000620C: D3AE00AC 06B2792C
	ds_read_b128 v[36:39], v226 offset:29120                   // 000000006214: D9FE71C0 240000E2
	ds_read_b128 v[40:43], v226 offset:29152                   // 00000000621C: D9FE71E0 280000E2
	s_waitcnt lgkmcnt(4)                                       // 000000006224: BF8CC47F
	v_mfma_f32_32x32x64_f8f6f4 v[172:187], v[52:59], v[68:75], v[172:187]// 000000006228: D3AE00AC 06B28934
	ds_read_b128 v[44:47], v226 offset:33280                   // 000000006230: D9FE8200 2C0000E2
	ds_read_b128 v[48:51], v226 offset:33312                   // 000000006238: D9FE8220 300000E2
	s_addk_i32 s72, 0x80                                       // 000000006240: B7480080

0000000000006244 <label_0F91>:
	s_cmp_lt_i32 s72, s89                                      // 000000006244: BF045948
	s_cbranch_scc0 label_1A39                                  // 000000006248: BF840AA6
	s_waitcnt lgkmcnt(4)                                       // 00000000624C: BF8CC47F
	v_mfma_f32_32x32x64_f8f6f4 v[60:75], v[28:35], v[4:11], 0  // 000000006250: D3AE003C 0202091C
	v_mul_i32_i24_dpp v192, v188, v234 quad_perm:[0,0,0,0] row_mask:0xf bank_mask:0xf// 000000006258: 0D81D4FA FF0000BC
	v_mul_i32_i24_dpp v193, v188, v234 quad_perm:[1,1,1,1] row_mask:0xf bank_mask:0xf// 000000006260: 0D83D4FA FF0055BC
	v_add_u32_e32 v219, v218, v192                             // 000000006268: 69B781DA
	v_add_u32_e32 v220, v218, v193                             // 00000000626C: 69B983DA
	ds_read_b128 v[52:55], v226 offset:25472                   // 000000006270: D9FE6380 340000E2
	ds_read_b128 v[56:59], v226 offset:25504                   // 000000006278: D9FE63A0 380000E2
	s_waitcnt lgkmcnt(4)                                       // 000000006280: BF8CC47F
	v_mfma_f32_32x32x64_f8f6f4 v[60:75], v[36:43], v[12:19], v[60:75]// 000000006284: D3AE003C 04F21924
	s_add_u32 m0, s93, 0                                       // 00000000628C: 807C805D
	buffer_load_dwordx4 v219, s[8:11], 0 offen lds             // 000000006290: E05D1000 800200DB
	ds_read_b128 v[28:31], v226 offset:29632                   // 000000006298: D9FE73C0 1C0000E2
	ds_read_b128 v[32:35], v226 offset:29664                   // 0000000062A0: D9FE73E0 200000E2
	s_waitcnt lgkmcnt(4)                                       // 0000000062A8: BF8CC47F
	v_mfma_f32_32x32x64_f8f6f4 v[60:75], v[44:51], v[20:27], v[60:75]// 0000000062AC: D3AE003C 04F2292C
	s_add_u32 m0, s93, 0x410                                   // 0000000062B4: 807CFF5D 00000410
	buffer_load_dwordx4 v220, s[8:11], 0 offen lds             // 0000000062BC: E05D1000 800200DC
	ds_read_b128 v[36:39], v226 offset:33792                   // 0000000062C4: D9FE8400 240000E2
	ds_read_b128 v[40:43], v226 offset:33824                   // 0000000062CC: D9FE8420 280000E2
	s_waitcnt lgkmcnt(4)                                       // 0000000062D4: BF8CC47F
	v_mfma_f32_32x32x64_f8f6f4 v[76:91], v[52:59], v[4:11], 0  // 0000000062D8: D3AE004C 02020934
	s_add_u32 m0, s93, 0x1000                                  // 0000000062E0: 807CFF5D 00001000
	buffer_load_dwordx4 v219, s[8:11], 0 offen offset:64 lds   // 0000000062E8: E05D1040 800200DB
	ds_read_b128 v[44:47], v226 offset:37440                   // 0000000062F0: D9FE9240 2C0000E2
	ds_read_b128 v[48:51], v226 offset:37472                   // 0000000062F8: D9FE9260 300000E2
	s_waitcnt lgkmcnt(4)                                       // 000000006300: BF8CC47F
	v_mfma_f32_32x32x64_f8f6f4 v[76:91], v[28:35], v[12:19], v[76:91]// 000000006304: D3AE004C 0532191C
	s_add_u32 m0, s93, 0x1410                                  // 00000000630C: 807CFF5D 00001410
	buffer_load_dwordx4 v220, s[8:11], 0 offen offset:64 lds   // 000000006314: E05D1040 800200DC
	ds_read_b128 v[52:55], v226 offset:41600                   // 00000000631C: D9FEA280 340000E2
	ds_read_b128 v[56:59], v226 offset:41632                   // 000000006324: D9FEA2A0 380000E2
	s_waitcnt lgkmcnt(4)                                       // 00000000632C: BF8CC47F
	v_mfma_f32_32x32x64_f8f6f4 v[76:91], v[36:43], v[20:27], v[76:91]// 000000006330: D3AE004C 05322924
	s_add_u32 m0, s93, 0x2000                                  // 000000006338: 807CFF5D 00002000
	buffer_load_dwordx4 v219, s[8:11], 0 offen offset:128 lds  // 000000006340: E05D1080 800200DB
	ds_read_b128 v[28:31], v226 offset:45760                   // 000000006348: D9FEB2C0 1C0000E2
	ds_read_b128 v[32:35], v226 offset:45792                   // 000000006350: D9FEB2E0 200000E2
	s_waitcnt lgkmcnt(4)                                       // 000000006358: BF8CC47F
	v_mfma_f32_32x32x64_f8f6f4 v[92:107], v[44:51], v[4:11], 0 // 00000000635C: D3AE005C 0202092C
	s_add_u32 m0, s93, 0x2410                                  // 000000006364: 807CFF5D 00002410
	buffer_load_dwordx4 v220, s[8:11], 0 offen offset:128 lds  // 00000000636C: E05D1080 800200DC
	ds_read_b128 v[36:39], v226 offset:37952                   // 000000006374: D9FE9440 240000E2
	ds_read_b128 v[40:43], v226 offset:37984                   // 00000000637C: D9FE9460 280000E2
	s_waitcnt lgkmcnt(4)                                       // 000000006384: BF8CC47F
	v_mfma_f32_32x32x64_f8f6f4 v[92:107], v[52:59], v[12:19], v[92:107]// 000000006388: D3AE005C 05721934
	ds_read_b128 v[44:47], v226 offset:42112                   // 000000006390: D9FEA480 2C0000E2
	ds_read_b128 v[48:51], v226 offset:42144                   // 000000006398: D9FEA4A0 300000E2
	s_waitcnt lgkmcnt(4)                                       // 0000000063A0: BF8CC47F
	v_mfma_f32_32x32x64_f8f6f4 v[92:107], v[28:35], v[20:27], v[92:107]// 0000000063A4: D3AE005C 0572291C
	ds_read_b128 v[52:55], v226 offset:46272                   // 0000000063AC: D9FEB4C0 340000E2
	ds_read_b128 v[56:59], v226 offset:46304                   // 0000000063B4: D9FEB4E0 380000E2
	s_waitcnt lgkmcnt(4)                                       // 0000000063BC: BF8CC47F
	v_mfma_f32_32x32x64_f8f6f4 v[108:123], v[36:43], v[4:11], 0// 0000000063C0: D3AE006C 02020924
	s_barrier                                                  // 0000000063C8: BF8A0000
	ds_read_b64_tr_b8 v[28:29], v227 offset:16640              // 0000000063CC: D9C44100 1C0000E3
	ds_read_b64_tr_b8 v[30:31], v227 offset:16896              // 0000000063D4: D9C44200 1E0000E3
	ds_read_b64_tr_b8 v[32:33], v227 offset:17152              // 0000000063DC: D9C44300 200000E3
	ds_read_b64_tr_b8 v[34:35], v227 offset:17408              // 0000000063E4: D9C44400 220000E3
	s_waitcnt lgkmcnt(6)                                       // 0000000063EC: BF8CC67F
	v_mfma_f32_32x32x64_f8f6f4 v[108:123], v[44:51], v[12:19], v[108:123]// 0000000063F0: D3AE006C 05B2192C
	ds_read_b64_tr_b8 v[36:37], v227 offset:24960              // 0000000063F8: D9C46180 240000E3
	ds_read_b64_tr_b8 v[38:39], v227 offset:25216              // 000000006400: D9C46280 260000E3
	ds_read_b64_tr_b8 v[40:41], v227 offset:25472              // 000000006408: D9C46380 280000E3
	ds_read_b64_tr_b8 v[42:43], v227 offset:25728              // 000000006410: D9C46480 2A0000E3
	s_waitcnt lgkmcnt(8)                                       // 000000006418: BF8CC87F
	v_mfma_f32_32x32x64_f8f6f4 v[108:123], v[52:59], v[20:27], v[108:123]// 00000000641C: D3AE006C 05B22934
	ds_read_b64_tr_b8 v[44:45], v227 offset:16672              // 000000006424: D9C44120 2C0000E3
	ds_read_b64_tr_b8 v[46:47], v227 offset:16928              // 00000000642C: D9C44220 2E0000E3
	ds_read_b64_tr_b8 v[48:49], v227 offset:17184              // 000000006434: D9C44320 300000E3
	ds_read_b64_tr_b8 v[50:51], v227 offset:17440              // 00000000643C: D9C44420 320000E3
	s_nop 5                                                    // 000000006444: BF800005
	s_barrier                                                  // 000000006448: BF8A0000
	s_setprio 0                                                // 00000000644C: BF8F0000
	s_barrier                                                  // 000000006450: BF8A0000
	v_add_u32_e32 v192, s72, v203                              // 000000006454: 69819648
	v_add_u32_e32 v193, 0, v192                                // 000000006458: 69838080
	v_cmp_lt_i32_e32 vcc, v193, v202                           // 00000000645C: 7D8395C1
	s_nop 0                                                    // 000000006460: BF800000
	v_cndmask_b32_e32 v60, v205, v60, vcc                      // 000000006464: 007879CD
	v_add_u32_e32 v193, 1, v192                                // 000000006468: 69838081
	v_cmp_lt_i32_e32 vcc, v193, v202                           // 00000000646C: 7D8395C1
	s_nop 0                                                    // 000000006470: BF800000
	v_cndmask_b32_e32 v61, v205, v61, vcc                      // 000000006474: 007A7BCD
	v_add_u32_e32 v193, 2, v192                                // 000000006478: 69838082
	v_cmp_lt_i32_e32 vcc, v193, v202                           // 00000000647C: 7D8395C1
	s_nop 0                                                    // 000000006480: BF800000
	v_cndmask_b32_e32 v62, v205, v62, vcc                      // 000000006484: 007C7DCD
	v_add_u32_e32 v193, 3, v192                                // 000000006488: 69838083
	v_cmp_lt_i32_e32 vcc, v193, v202                           // 00000000648C: 7D8395C1
	s_nop 0                                                    // 000000006490: BF800000
	v_cndmask_b32_e32 v63, v205, v63, vcc                      // 000000006494: 007E7FCD
	v_add_u32_e32 v193, 8, v192                                // 000000006498: 69838088
	v_cmp_lt_i32_e32 vcc, v193, v202                           // 00000000649C: 7D8395C1
	s_nop 0                                                    // 0000000064A0: BF800000
	v_cndmask_b32_e32 v64, v205, v64, vcc                      // 0000000064A4: 008081CD
	v_add_u32_e32 v193, 9, v192                                // 0000000064A8: 69838089
	v_cmp_lt_i32_e32 vcc, v193, v202                           // 0000000064AC: 7D8395C1
	s_nop 0                                                    // 0000000064B0: BF800000
	v_cndmask_b32_e32 v65, v205, v65, vcc                      // 0000000064B4: 008283CD
	v_add_u32_e32 v193, 10, v192                               // 0000000064B8: 6983808A
	v_cmp_lt_i32_e32 vcc, v193, v202                           // 0000000064BC: 7D8395C1
	s_nop 0                                                    // 0000000064C0: BF800000
	v_cndmask_b32_e32 v66, v205, v66, vcc                      // 0000000064C4: 008485CD
	v_add_u32_e32 v193, 11, v192                               // 0000000064C8: 6983808B
	v_cmp_lt_i32_e32 vcc, v193, v202                           // 0000000064CC: 7D8395C1
	s_nop 0                                                    // 0000000064D0: BF800000
	v_cndmask_b32_e32 v67, v205, v67, vcc                      // 0000000064D4: 008687CD
	v_add_u32_e32 v193, 16, v192                               // 0000000064D8: 69838090
	v_cmp_lt_i32_e32 vcc, v193, v202                           // 0000000064DC: 7D8395C1
	s_nop 0                                                    // 0000000064E0: BF800000
	v_cndmask_b32_e32 v68, v205, v68, vcc                      // 0000000064E4: 008889CD
	v_add_u32_e32 v193, 17, v192                               // 0000000064E8: 69838091
	v_cmp_lt_i32_e32 vcc, v193, v202                           // 0000000064EC: 7D8395C1
	s_nop 0                                                    // 0000000064F0: BF800000
	v_cndmask_b32_e32 v69, v205, v69, vcc                      // 0000000064F4: 008A8BCD
	v_add_u32_e32 v193, 18, v192                               // 0000000064F8: 69838092
	v_cmp_lt_i32_e32 vcc, v193, v202                           // 0000000064FC: 7D8395C1
	s_nop 0                                                    // 000000006500: BF800000
	v_cndmask_b32_e32 v70, v205, v70, vcc                      // 000000006504: 008C8DCD
	v_add_u32_e32 v193, 19, v192                               // 000000006508: 69838093
	v_cmp_lt_i32_e32 vcc, v193, v202                           // 00000000650C: 7D8395C1
	s_nop 0                                                    // 000000006510: BF800000
	v_cndmask_b32_e32 v71, v205, v71, vcc                      // 000000006514: 008E8FCD
	v_add_u32_e32 v193, 24, v192                               // 000000006518: 69838098
	v_cmp_lt_i32_e32 vcc, v193, v202                           // 00000000651C: 7D8395C1
	s_nop 0                                                    // 000000006520: BF800000
	v_cndmask_b32_e32 v72, v205, v72, vcc                      // 000000006524: 009091CD
	v_add_u32_e32 v193, 25, v192                               // 000000006528: 69838099
	v_cmp_lt_i32_e32 vcc, v193, v202                           // 00000000652C: 7D8395C1
	s_nop 0                                                    // 000000006530: BF800000
	v_cndmask_b32_e32 v73, v205, v73, vcc                      // 000000006534: 009293CD
	v_add_u32_e32 v193, 26, v192                               // 000000006538: 6983809A
	v_cmp_lt_i32_e32 vcc, v193, v202                           // 00000000653C: 7D8395C1
	s_nop 0                                                    // 000000006540: BF800000
	v_cndmask_b32_e32 v74, v205, v74, vcc                      // 000000006544: 009495CD
	v_add_u32_e32 v193, 27, v192                               // 000000006548: 6983809B
	v_cmp_lt_i32_e32 vcc, v193, v202                           // 00000000654C: 7D8395C1
	s_nop 0                                                    // 000000006550: BF800000
	v_cndmask_b32_e32 v75, v205, v75, vcc                      // 000000006554: 009697CD
	v_add_u32_e32 v193, 32, v192                               // 000000006558: 698380A0
	v_cmp_lt_i32_e32 vcc, v193, v202                           // 00000000655C: 7D8395C1
	s_nop 0                                                    // 000000006560: BF800000
	v_cndmask_b32_e32 v76, v205, v76, vcc                      // 000000006564: 009899CD
	v_add_u32_e32 v193, 33, v192                               // 000000006568: 698380A1
	v_cmp_lt_i32_e32 vcc, v193, v202                           // 00000000656C: 7D8395C1
	s_nop 0                                                    // 000000006570: BF800000
	v_cndmask_b32_e32 v77, v205, v77, vcc                      // 000000006574: 009A9BCD
	v_add_u32_e32 v193, 34, v192                               // 000000006578: 698380A2
	v_cmp_lt_i32_e32 vcc, v193, v202                           // 00000000657C: 7D8395C1
	s_nop 0                                                    // 000000006580: BF800000
	v_cndmask_b32_e32 v78, v205, v78, vcc                      // 000000006584: 009C9DCD
	v_add_u32_e32 v193, 35, v192                               // 000000006588: 698380A3
	v_cmp_lt_i32_e32 vcc, v193, v202                           // 00000000658C: 7D8395C1
	s_nop 0                                                    // 000000006590: BF800000
	v_cndmask_b32_e32 v79, v205, v79, vcc                      // 000000006594: 009E9FCD
	v_add_u32_e32 v193, 40, v192                               // 000000006598: 698380A8
	v_cmp_lt_i32_e32 vcc, v193, v202                           // 00000000659C: 7D8395C1
	s_nop 0                                                    // 0000000065A0: BF800000
	v_cndmask_b32_e32 v80, v205, v80, vcc                      // 0000000065A4: 00A0A1CD
	v_add_u32_e32 v193, 41, v192                               // 0000000065A8: 698380A9
	v_cmp_lt_i32_e32 vcc, v193, v202                           // 0000000065AC: 7D8395C1
	s_nop 0                                                    // 0000000065B0: BF800000
	v_cndmask_b32_e32 v81, v205, v81, vcc                      // 0000000065B4: 00A2A3CD
	v_add_u32_e32 v193, 42, v192                               // 0000000065B8: 698380AA
	v_cmp_lt_i32_e32 vcc, v193, v202                           // 0000000065BC: 7D8395C1
	s_nop 0                                                    // 0000000065C0: BF800000
	v_cndmask_b32_e32 v82, v205, v82, vcc                      // 0000000065C4: 00A4A5CD
	v_add_u32_e32 v193, 43, v192                               // 0000000065C8: 698380AB
	v_cmp_lt_i32_e32 vcc, v193, v202                           // 0000000065CC: 7D8395C1
	s_nop 0                                                    // 0000000065D0: BF800000
	v_cndmask_b32_e32 v83, v205, v83, vcc                      // 0000000065D4: 00A6A7CD
	v_add_u32_e32 v193, 48, v192                               // 0000000065D8: 698380B0
	v_cmp_lt_i32_e32 vcc, v193, v202                           // 0000000065DC: 7D8395C1
	s_nop 0                                                    // 0000000065E0: BF800000
	v_cndmask_b32_e32 v84, v205, v84, vcc                      // 0000000065E4: 00A8A9CD
	v_add_u32_e32 v193, 49, v192                               // 0000000065E8: 698380B1
	v_cmp_lt_i32_e32 vcc, v193, v202                           // 0000000065EC: 7D8395C1
	s_nop 0                                                    // 0000000065F0: BF800000
	v_cndmask_b32_e32 v85, v205, v85, vcc                      // 0000000065F4: 00AAABCD
	v_add_u32_e32 v193, 50, v192                               // 0000000065F8: 698380B2
	v_cmp_lt_i32_e32 vcc, v193, v202                           // 0000000065FC: 7D8395C1
	s_nop 0                                                    // 000000006600: BF800000
	v_cndmask_b32_e32 v86, v205, v86, vcc                      // 000000006604: 00ACADCD
	v_add_u32_e32 v193, 51, v192                               // 000000006608: 698380B3
	v_cmp_lt_i32_e32 vcc, v193, v202                           // 00000000660C: 7D8395C1
	s_nop 0                                                    // 000000006610: BF800000
	v_cndmask_b32_e32 v87, v205, v87, vcc                      // 000000006614: 00AEAFCD
	v_add_u32_e32 v193, 56, v192                               // 000000006618: 698380B8
	v_cmp_lt_i32_e32 vcc, v193, v202                           // 00000000661C: 7D8395C1
	s_nop 0                                                    // 000000006620: BF800000
	v_cndmask_b32_e32 v88, v205, v88, vcc                      // 000000006624: 00B0B1CD
	v_add_u32_e32 v193, 57, v192                               // 000000006628: 698380B9
	v_cmp_lt_i32_e32 vcc, v193, v202                           // 00000000662C: 7D8395C1
	s_nop 0                                                    // 000000006630: BF800000
	v_cndmask_b32_e32 v89, v205, v89, vcc                      // 000000006634: 00B2B3CD
	v_add_u32_e32 v193, 58, v192                               // 000000006638: 698380BA
	v_cmp_lt_i32_e32 vcc, v193, v202                           // 00000000663C: 7D8395C1
	s_nop 0                                                    // 000000006640: BF800000
	v_cndmask_b32_e32 v90, v205, v90, vcc                      // 000000006644: 00B4B5CD
	v_add_u32_e32 v193, 59, v192                               // 000000006648: 698380BB
	v_cmp_lt_i32_e32 vcc, v193, v202                           // 00000000664C: 7D8395C1
	s_nop 0                                                    // 000000006650: BF800000
	v_cndmask_b32_e32 v91, v205, v91, vcc                      // 000000006654: 00B6B7CD
	v_add_u32_e32 v193, 64, v192                               // 000000006658: 698380C0
	v_cmp_lt_i32_e32 vcc, v193, v202                           // 00000000665C: 7D8395C1
	s_nop 0                                                    // 000000006660: BF800000
	v_cndmask_b32_e32 v92, v205, v92, vcc                      // 000000006664: 00B8B9CD
	v_add_u32_e32 v193, 0x41, v192                             // 000000006668: 698380FF 00000041
	v_cmp_lt_i32_e32 vcc, v193, v202                           // 000000006670: 7D8395C1
	s_nop 0                                                    // 000000006674: BF800000
	v_cndmask_b32_e32 v93, v205, v93, vcc                      // 000000006678: 00BABBCD
	v_add_u32_e32 v193, 0x42, v192                             // 00000000667C: 698380FF 00000042
	v_cmp_lt_i32_e32 vcc, v193, v202                           // 000000006684: 7D8395C1
	s_nop 0                                                    // 000000006688: BF800000
	v_cndmask_b32_e32 v94, v205, v94, vcc                      // 00000000668C: 00BCBDCD
	v_add_u32_e32 v193, 0x43, v192                             // 000000006690: 698380FF 00000043
	v_cmp_lt_i32_e32 vcc, v193, v202                           // 000000006698: 7D8395C1
	s_nop 0                                                    // 00000000669C: BF800000
	v_cndmask_b32_e32 v95, v205, v95, vcc                      // 0000000066A0: 00BEBFCD
	v_add_u32_e32 v193, 0x48, v192                             // 0000000066A4: 698380FF 00000048
	v_cmp_lt_i32_e32 vcc, v193, v202                           // 0000000066AC: 7D8395C1
	s_nop 0                                                    // 0000000066B0: BF800000
	v_cndmask_b32_e32 v96, v205, v96, vcc                      // 0000000066B4: 00C0C1CD
	v_add_u32_e32 v193, 0x49, v192                             // 0000000066B8: 698380FF 00000049
	v_cmp_lt_i32_e32 vcc, v193, v202                           // 0000000066C0: 7D8395C1
	s_nop 0                                                    // 0000000066C4: BF800000
	v_cndmask_b32_e32 v97, v205, v97, vcc                      // 0000000066C8: 00C2C3CD
	v_add_u32_e32 v193, 0x4a, v192                             // 0000000066CC: 698380FF 0000004A
	v_cmp_lt_i32_e32 vcc, v193, v202                           // 0000000066D4: 7D8395C1
	s_nop 0                                                    // 0000000066D8: BF800000
	v_cndmask_b32_e32 v98, v205, v98, vcc                      // 0000000066DC: 00C4C5CD
	v_add_u32_e32 v193, 0x4b, v192                             // 0000000066E0: 698380FF 0000004B
	v_cmp_lt_i32_e32 vcc, v193, v202                           // 0000000066E8: 7D8395C1
	s_nop 0                                                    // 0000000066EC: BF800000
	v_cndmask_b32_e32 v99, v205, v99, vcc                      // 0000000066F0: 00C6C7CD
	v_add_u32_e32 v193, 0x50, v192                             // 0000000066F4: 698380FF 00000050
	v_cmp_lt_i32_e32 vcc, v193, v202                           // 0000000066FC: 7D8395C1
	s_nop 0                                                    // 000000006700: BF800000
	v_cndmask_b32_e32 v100, v205, v100, vcc                    // 000000006704: 00C8C9CD
	v_add_u32_e32 v193, 0x51, v192                             // 000000006708: 698380FF 00000051
	v_cmp_lt_i32_e32 vcc, v193, v202                           // 000000006710: 7D8395C1
	s_nop 0                                                    // 000000006714: BF800000
	v_cndmask_b32_e32 v101, v205, v101, vcc                    // 000000006718: 00CACBCD
	v_add_u32_e32 v193, 0x52, v192                             // 00000000671C: 698380FF 00000052
	v_cmp_lt_i32_e32 vcc, v193, v202                           // 000000006724: 7D8395C1
	s_nop 0                                                    // 000000006728: BF800000
	v_cndmask_b32_e32 v102, v205, v102, vcc                    // 00000000672C: 00CCCDCD
	v_add_u32_e32 v193, 0x53, v192                             // 000000006730: 698380FF 00000053
	v_cmp_lt_i32_e32 vcc, v193, v202                           // 000000006738: 7D8395C1
	s_nop 0                                                    // 00000000673C: BF800000
	v_cndmask_b32_e32 v103, v205, v103, vcc                    // 000000006740: 00CECFCD
	v_add_u32_e32 v193, 0x58, v192                             // 000000006744: 698380FF 00000058
	v_cmp_lt_i32_e32 vcc, v193, v202                           // 00000000674C: 7D8395C1
	s_nop 0                                                    // 000000006750: BF800000
	v_cndmask_b32_e32 v104, v205, v104, vcc                    // 000000006754: 00D0D1CD
	v_add_u32_e32 v193, 0x59, v192                             // 000000006758: 698380FF 00000059
	v_cmp_lt_i32_e32 vcc, v193, v202                           // 000000006760: 7D8395C1
	s_nop 0                                                    // 000000006764: BF800000
	v_cndmask_b32_e32 v105, v205, v105, vcc                    // 000000006768: 00D2D3CD
	v_add_u32_e32 v193, 0x5a, v192                             // 00000000676C: 698380FF 0000005A
	v_cmp_lt_i32_e32 vcc, v193, v202                           // 000000006774: 7D8395C1
	s_nop 0                                                    // 000000006778: BF800000
	v_cndmask_b32_e32 v106, v205, v106, vcc                    // 00000000677C: 00D4D5CD
	v_add_u32_e32 v193, 0x5b, v192                             // 000000006780: 698380FF 0000005B
	v_cmp_lt_i32_e32 vcc, v193, v202                           // 000000006788: 7D8395C1
	s_nop 0                                                    // 00000000678C: BF800000
	v_cndmask_b32_e32 v107, v205, v107, vcc                    // 000000006790: 00D6D7CD
	v_add_u32_e32 v193, 0x60, v192                             // 000000006794: 698380FF 00000060
	v_cmp_lt_i32_e32 vcc, v193, v202                           // 00000000679C: 7D8395C1
	s_nop 0                                                    // 0000000067A0: BF800000
	v_cndmask_b32_e32 v108, v205, v108, vcc                    // 0000000067A4: 00D8D9CD
	v_add_u32_e32 v193, 0x61, v192                             // 0000000067A8: 698380FF 00000061
	v_cmp_lt_i32_e32 vcc, v193, v202                           // 0000000067B0: 7D8395C1
	s_nop 0                                                    // 0000000067B4: BF800000
	v_cndmask_b32_e32 v109, v205, v109, vcc                    // 0000000067B8: 00DADBCD
	v_add_u32_e32 v193, 0x62, v192                             // 0000000067BC: 698380FF 00000062
	v_cmp_lt_i32_e32 vcc, v193, v202                           // 0000000067C4: 7D8395C1
	s_nop 0                                                    // 0000000067C8: BF800000
	v_cndmask_b32_e32 v110, v205, v110, vcc                    // 0000000067CC: 00DCDDCD
	v_add_u32_e32 v193, 0x63, v192                             // 0000000067D0: 698380FF 00000063
	v_cmp_lt_i32_e32 vcc, v193, v202                           // 0000000067D8: 7D8395C1
	s_nop 0                                                    // 0000000067DC: BF800000
	v_cndmask_b32_e32 v111, v205, v111, vcc                    // 0000000067E0: 00DEDFCD
	v_add_u32_e32 v193, 0x68, v192                             // 0000000067E4: 698380FF 00000068
	v_cmp_lt_i32_e32 vcc, v193, v202                           // 0000000067EC: 7D8395C1
	s_nop 0                                                    // 0000000067F0: BF800000
	v_cndmask_b32_e32 v112, v205, v112, vcc                    // 0000000067F4: 00E0E1CD
	v_add_u32_e32 v193, 0x69, v192                             // 0000000067F8: 698380FF 00000069
	v_cmp_lt_i32_e32 vcc, v193, v202                           // 000000006800: 7D8395C1
	s_nop 0                                                    // 000000006804: BF800000
	v_cndmask_b32_e32 v113, v205, v113, vcc                    // 000000006808: 00E2E3CD
	v_add_u32_e32 v193, 0x6a, v192                             // 00000000680C: 698380FF 0000006A
	v_cmp_lt_i32_e32 vcc, v193, v202                           // 000000006814: 7D8395C1
	s_nop 0                                                    // 000000006818: BF800000
	v_cndmask_b32_e32 v114, v205, v114, vcc                    // 00000000681C: 00E4E5CD
	v_add_u32_e32 v193, 0x6b, v192                             // 000000006820: 698380FF 0000006B
	v_cmp_lt_i32_e32 vcc, v193, v202                           // 000000006828: 7D8395C1
	s_nop 0                                                    // 00000000682C: BF800000
	v_cndmask_b32_e32 v115, v205, v115, vcc                    // 000000006830: 00E6E7CD
	v_add_u32_e32 v193, 0x70, v192                             // 000000006834: 698380FF 00000070
	v_cmp_lt_i32_e32 vcc, v193, v202                           // 00000000683C: 7D8395C1
	s_nop 0                                                    // 000000006840: BF800000
	v_cndmask_b32_e32 v116, v205, v116, vcc                    // 000000006844: 00E8E9CD
	v_add_u32_e32 v193, 0x71, v192                             // 000000006848: 698380FF 00000071
	v_cmp_lt_i32_e32 vcc, v193, v202                           // 000000006850: 7D8395C1
	s_nop 0                                                    // 000000006854: BF800000
	v_cndmask_b32_e32 v117, v205, v117, vcc                    // 000000006858: 00EAEBCD
	v_add_u32_e32 v193, 0x72, v192                             // 00000000685C: 698380FF 00000072
	v_cmp_lt_i32_e32 vcc, v193, v202                           // 000000006864: 7D8395C1
	s_nop 0                                                    // 000000006868: BF800000
	v_cndmask_b32_e32 v118, v205, v118, vcc                    // 00000000686C: 00ECEDCD
	v_add_u32_e32 v193, 0x73, v192                             // 000000006870: 698380FF 00000073
	v_cmp_lt_i32_e32 vcc, v193, v202                           // 000000006878: 7D8395C1
	s_nop 0                                                    // 00000000687C: BF800000
	v_cndmask_b32_e32 v119, v205, v119, vcc                    // 000000006880: 00EEEFCD
	v_add_u32_e32 v193, 0x78, v192                             // 000000006884: 698380FF 00000078
	v_cmp_lt_i32_e32 vcc, v193, v202                           // 00000000688C: 7D8395C1
	s_nop 0                                                    // 000000006890: BF800000
	v_cndmask_b32_e32 v120, v205, v120, vcc                    // 000000006894: 00F0F1CD
	v_add_u32_e32 v193, 0x79, v192                             // 000000006898: 698380FF 00000079
	v_cmp_lt_i32_e32 vcc, v193, v202                           // 0000000068A0: 7D8395C1
	s_nop 0                                                    // 0000000068A4: BF800000
	v_cndmask_b32_e32 v121, v205, v121, vcc                    // 0000000068A8: 00F2F3CD
	v_add_u32_e32 v193, 0x7a, v192                             // 0000000068AC: 698380FF 0000007A
	v_cmp_lt_i32_e32 vcc, v193, v202                           // 0000000068B4: 7D8395C1
	s_nop 0                                                    // 0000000068B8: BF800000
	v_cndmask_b32_e32 v122, v205, v122, vcc                    // 0000000068BC: 00F4F5CD
	v_add_u32_e32 v193, 0x7b, v192                             // 0000000068C0: 698380FF 0000007B
	v_cmp_lt_i32_e32 vcc, v193, v202                           // 0000000068C8: 7D8395C1
	s_nop 0                                                    // 0000000068CC: BF800000
	v_cndmask_b32_e32 v123, v205, v123, vcc                    // 0000000068D0: 00F6F7CD
	v_mov_b32_e32 v201, v200                                   // 0000000068D4: 7F9203C8
	v_max3_f32 v201, v60, v61, v201                            // 0000000068D8: D1D300C9 07267B3C
	v_max3_f32 v201, v62, v63, v201                            // 0000000068E0: D1D300C9 07267F3E
	v_max3_f32 v201, v64, v65, v201                            // 0000000068E8: D1D300C9 07268340
	v_max3_f32 v201, v66, v67, v201                            // 0000000068F0: D1D300C9 07268742
	v_max3_f32 v201, v68, v69, v201                            // 0000000068F8: D1D300C9 07268B44
	v_max3_f32 v201, v70, v71, v201                            // 000000006900: D1D300C9 07268F46
	v_max3_f32 v201, v72, v73, v201                            // 000000006908: D1D300C9 07269348
	v_max3_f32 v201, v74, v75, v201                            // 000000006910: D1D300C9 0726974A
	v_max3_f32 v201, v76, v77, v201                            // 000000006918: D1D300C9 07269B4C
	v_max3_f32 v201, v78, v79, v201                            // 000000006920: D1D300C9 07269F4E
	v_max3_f32 v201, v80, v81, v201                            // 000000006928: D1D300C9 0726A350
	v_max3_f32 v201, v82, v83, v201                            // 000000006930: D1D300C9 0726A752
	v_max3_f32 v201, v84, v85, v201                            // 000000006938: D1D300C9 0726AB54
	v_max3_f32 v201, v86, v87, v201                            // 000000006940: D1D300C9 0726AF56
	v_max3_f32 v201, v88, v89, v201                            // 000000006948: D1D300C9 0726B358
	v_max3_f32 v201, v90, v91, v201                            // 000000006950: D1D300C9 0726B75A
	v_max3_f32 v201, v92, v93, v201                            // 000000006958: D1D300C9 0726BB5C
	v_max3_f32 v201, v94, v95, v201                            // 000000006960: D1D300C9 0726BF5E
	v_max3_f32 v201, v96, v97, v201                            // 000000006968: D1D300C9 0726C360
	v_max3_f32 v201, v98, v99, v201                            // 000000006970: D1D300C9 0726C762
	v_max3_f32 v201, v100, v101, v201                          // 000000006978: D1D300C9 0726CB64
	v_max3_f32 v201, v102, v103, v201                          // 000000006980: D1D300C9 0726CF66
	v_max3_f32 v201, v104, v105, v201                          // 000000006988: D1D300C9 0726D368
	v_max3_f32 v201, v106, v107, v201                          // 000000006990: D1D300C9 0726D76A
	v_max3_f32 v201, v108, v109, v201                          // 000000006998: D1D300C9 0726DB6C
	v_max3_f32 v201, v110, v111, v201                          // 0000000069A0: D1D300C9 0726DF6E
	v_max3_f32 v201, v112, v113, v201                          // 0000000069A8: D1D300C9 0726E370
	v_max3_f32 v201, v114, v115, v201                          // 0000000069B0: D1D300C9 0726E772
	v_max3_f32 v201, v116, v117, v201                          // 0000000069B8: D1D300C9 0726EB74
	v_max3_f32 v201, v118, v119, v201                          // 0000000069C0: D1D300C9 0726EF76
	v_max3_f32 v201, v120, v121, v201                          // 0000000069C8: D1D300C9 0726F378
	v_max3_f32 v201, v122, v123, v201                          // 0000000069D0: D1D300C9 0726F77A
	v_mov_b32_e32 v192, v201                                   // 0000000069D8: 7F8003C9
	s_nop 1                                                    // 0000000069DC: BF800001
	s_nop 0                                                    // 0000000069E0: BF800000
	v_permlane32_swap_b32_e32 v192, v201                       // 0000000069E4: 7F80B5C9
	v_max_f32_e32 v201, v201, v192                             // 0000000069E8: 179381C9
	v_mul_f32_e64 v192, -s54, v201                             // 0000000069EC: D10500C0 20039236
	v_mov_b32_e32 v193, v192                                   // 0000000069F4: 7F8203C0
	v_pk_fma_f32 v[60:61], v[60:61], s[54:55], v[192:193]      // 0000000069F8: D3B0403C 1F006D3C
	v_pk_fma_f32 v[62:63], v[62:63], s[54:55], v[192:193]      // 000000006A00: D3B0403E 1F006D3E
	v_pk_fma_f32 v[64:65], v[64:65], s[54:55], v[192:193]      // 000000006A08: D3B04040 1F006D40
	v_pk_fma_f32 v[66:67], v[66:67], s[54:55], v[192:193]      // 000000006A10: D3B04042 1F006D42
	v_pk_fma_f32 v[68:69], v[68:69], s[54:55], v[192:193]      // 000000006A18: D3B04044 1F006D44
	v_pk_fma_f32 v[70:71], v[70:71], s[54:55], v[192:193]      // 000000006A20: D3B04046 1F006D46
	v_pk_fma_f32 v[72:73], v[72:73], s[54:55], v[192:193]      // 000000006A28: D3B04048 1F006D48
	v_pk_fma_f32 v[74:75], v[74:75], s[54:55], v[192:193]      // 000000006A30: D3B0404A 1F006D4A
	v_pk_fma_f32 v[76:77], v[76:77], s[54:55], v[192:193]      // 000000006A38: D3B0404C 1F006D4C
	v_pk_fma_f32 v[78:79], v[78:79], s[54:55], v[192:193]      // 000000006A40: D3B0404E 1F006D4E
	v_pk_fma_f32 v[80:81], v[80:81], s[54:55], v[192:193]      // 000000006A48: D3B04050 1F006D50
	v_pk_fma_f32 v[82:83], v[82:83], s[54:55], v[192:193]      // 000000006A50: D3B04052 1F006D52
	v_pk_fma_f32 v[84:85], v[84:85], s[54:55], v[192:193]      // 000000006A58: D3B04054 1F006D54
	v_pk_fma_f32 v[86:87], v[86:87], s[54:55], v[192:193]      // 000000006A60: D3B04056 1F006D56
	v_pk_fma_f32 v[88:89], v[88:89], s[54:55], v[192:193]      // 000000006A68: D3B04058 1F006D58
	v_pk_fma_f32 v[90:91], v[90:91], s[54:55], v[192:193]      // 000000006A70: D3B0405A 1F006D5A
	v_pk_fma_f32 v[92:93], v[92:93], s[54:55], v[192:193]      // 000000006A78: D3B0405C 1F006D5C
	v_pk_fma_f32 v[94:95], v[94:95], s[54:55], v[192:193]      // 000000006A80: D3B0405E 1F006D5E
	v_pk_fma_f32 v[96:97], v[96:97], s[54:55], v[192:193]      // 000000006A88: D3B04060 1F006D60
	v_pk_fma_f32 v[98:99], v[98:99], s[54:55], v[192:193]      // 000000006A90: D3B04062 1F006D62
	v_pk_fma_f32 v[100:101], v[100:101], s[54:55], v[192:193]  // 000000006A98: D3B04064 1F006D64
	v_pk_fma_f32 v[102:103], v[102:103], s[54:55], v[192:193]  // 000000006AA0: D3B04066 1F006D66
	v_pk_fma_f32 v[104:105], v[104:105], s[54:55], v[192:193]  // 000000006AA8: D3B04068 1F006D68
	v_pk_fma_f32 v[106:107], v[106:107], s[54:55], v[192:193]  // 000000006AB0: D3B0406A 1F006D6A
	v_pk_fma_f32 v[108:109], v[108:109], s[54:55], v[192:193]  // 000000006AB8: D3B0406C 1F006D6C
	v_pk_fma_f32 v[110:111], v[110:111], s[54:55], v[192:193]  // 000000006AC0: D3B0406E 1F006D6E
	v_pk_fma_f32 v[112:113], v[112:113], s[54:55], v[192:193]  // 000000006AC8: D3B04070 1F006D70
	v_pk_fma_f32 v[114:115], v[114:115], s[54:55], v[192:193]  // 000000006AD0: D3B04072 1F006D72
	v_pk_fma_f32 v[116:117], v[116:117], s[54:55], v[192:193]  // 000000006AD8: D3B04074 1F006D74
	v_pk_fma_f32 v[118:119], v[118:119], s[54:55], v[192:193]  // 000000006AE0: D3B04076 1F006D76
	v_pk_fma_f32 v[120:121], v[120:121], s[54:55], v[192:193]  // 000000006AE8: D3B04078 1F006D78
	v_pk_fma_f32 v[122:123], v[122:123], s[54:55], v[192:193]  // 000000006AF0: D3B0407A 1F006D7A
	s_barrier                                                  // 000000006AF8: BF8A0000
	v_exp_f32_e32 v60, v60                                     // 000000006AFC: 7E78413C
	v_exp_f32_e32 v61, v61                                     // 000000006B00: 7E7A413D
	v_exp_f32_e32 v62, v62                                     // 000000006B04: 7E7C413E
	v_exp_f32_e32 v63, v63                                     // 000000006B08: 7E7E413F
	v_exp_f32_e32 v64, v64                                     // 000000006B0C: 7E804140
	v_exp_f32_e32 v65, v65                                     // 000000006B10: 7E824141
	v_exp_f32_e32 v66, v66                                     // 000000006B14: 7E844142
	v_exp_f32_e32 v67, v67                                     // 000000006B18: 7E864143
	v_exp_f32_e32 v68, v68                                     // 000000006B1C: 7E884144
	v_exp_f32_e32 v69, v69                                     // 000000006B20: 7E8A4145
	v_exp_f32_e32 v70, v70                                     // 000000006B24: 7E8C4146
	v_exp_f32_e32 v71, v71                                     // 000000006B28: 7E8E4147
	v_exp_f32_e32 v72, v72                                     // 000000006B2C: 7E904148
	v_exp_f32_e32 v73, v73                                     // 000000006B30: 7E924149
	v_exp_f32_e32 v74, v74                                     // 000000006B34: 7E94414A
	v_exp_f32_e32 v75, v75                                     // 000000006B38: 7E96414B
	v_exp_f32_e32 v76, v76                                     // 000000006B3C: 7E98414C
	v_exp_f32_e32 v77, v77                                     // 000000006B40: 7E9A414D
	v_exp_f32_e32 v78, v78                                     // 000000006B44: 7E9C414E
	v_exp_f32_e32 v79, v79                                     // 000000006B48: 7E9E414F
	v_exp_f32_e32 v80, v80                                     // 000000006B4C: 7EA04150
	v_exp_f32_e32 v81, v81                                     // 000000006B50: 7EA24151
	v_exp_f32_e32 v82, v82                                     // 000000006B54: 7EA44152
	v_exp_f32_e32 v83, v83                                     // 000000006B58: 7EA64153
	v_exp_f32_e32 v84, v84                                     // 000000006B5C: 7EA84154
	v_exp_f32_e32 v85, v85                                     // 000000006B60: 7EAA4155
	v_exp_f32_e32 v86, v86                                     // 000000006B64: 7EAC4156
	v_exp_f32_e32 v87, v87                                     // 000000006B68: 7EAE4157
	v_exp_f32_e32 v88, v88                                     // 000000006B6C: 7EB04158
	v_exp_f32_e32 v89, v89                                     // 000000006B70: 7EB24159
	v_exp_f32_e32 v90, v90                                     // 000000006B74: 7EB4415A
	v_exp_f32_e32 v91, v91                                     // 000000006B78: 7EB6415B
	v_exp_f32_e32 v92, v92                                     // 000000006B7C: 7EB8415C
	v_exp_f32_e32 v93, v93                                     // 000000006B80: 7EBA415D
	v_exp_f32_e32 v94, v94                                     // 000000006B84: 7EBC415E
	v_exp_f32_e32 v95, v95                                     // 000000006B88: 7EBE415F
	v_exp_f32_e32 v96, v96                                     // 000000006B8C: 7EC04160
	v_exp_f32_e32 v97, v97                                     // 000000006B90: 7EC24161
	v_exp_f32_e32 v98, v98                                     // 000000006B94: 7EC44162
	v_exp_f32_e32 v99, v99                                     // 000000006B98: 7EC64163
	v_exp_f32_e32 v100, v100                                   // 000000006B9C: 7EC84164
	v_exp_f32_e32 v101, v101                                   // 000000006BA0: 7ECA4165
	v_exp_f32_e32 v102, v102                                   // 000000006BA4: 7ECC4166
	v_exp_f32_e32 v103, v103                                   // 000000006BA8: 7ECE4167
	v_exp_f32_e32 v104, v104                                   // 000000006BAC: 7ED04168
	v_exp_f32_e32 v105, v105                                   // 000000006BB0: 7ED24169
	v_exp_f32_e32 v106, v106                                   // 000000006BB4: 7ED4416A
	v_exp_f32_e32 v107, v107                                   // 000000006BB8: 7ED6416B
	v_exp_f32_e32 v108, v108                                   // 000000006BBC: 7ED8416C
	v_exp_f32_e32 v109, v109                                   // 000000006BC0: 7EDA416D
	v_exp_f32_e32 v110, v110                                   // 000000006BC4: 7EDC416E
	v_exp_f32_e32 v111, v111                                   // 000000006BC8: 7EDE416F
	v_exp_f32_e32 v112, v112                                   // 000000006BCC: 7EE04170
	v_exp_f32_e32 v113, v113                                   // 000000006BD0: 7EE24171
	v_exp_f32_e32 v114, v114                                   // 000000006BD4: 7EE44172
	v_exp_f32_e32 v115, v115                                   // 000000006BD8: 7EE64173
	v_exp_f32_e32 v116, v116                                   // 000000006BDC: 7EE84174
	v_exp_f32_e32 v117, v117                                   // 000000006BE0: 7EEA4175
	v_exp_f32_e32 v118, v118                                   // 000000006BE4: 7EEC4176
	v_exp_f32_e32 v119, v119                                   // 000000006BE8: 7EEE4177
	v_exp_f32_e32 v120, v120                                   // 000000006BEC: 7EF04178
	v_exp_f32_e32 v121, v121                                   // 000000006BF0: 7EF24179
	v_exp_f32_e32 v122, v122                                   // 000000006BF4: 7EF4417A
	v_exp_f32_e32 v123, v123                                   // 000000006BF8: 7EF6417B
	v_sub_f32_e32 v196, v200, v201                             // 000000006BFC: 058993C8
	v_cmp_eq_u32_e64 s[64:65], v205, v200                      // 000000006C00: D0CA0040 000391CD
	s_nop 0                                                    // 000000006C08: BF800000
	v_cndmask_b32_e64 v196, v196, 0, s[64:65]                  // 000000006C0C: D10000C4 010101C4
	v_mov_b32_e32 v200, v201                                   // 000000006C14: 7F9003C9
	v_mul_f32_e32 v196, s54, v196                              // 000000006C18: 0B898836
	v_exp_f32_e32 v196, v196                                   // 000000006C1C: 7F8841C4
	s_nop 0                                                    // 000000006C20: BF800000
	v_mul_f32_e32 v198, v196, v198                             // 000000006C24: 0B8D8DC4
	v_add_f32_e32 v198, v60, v198                              // 000000006C28: 038D8D3C
	v_add_f32_e32 v198, v61, v198                              // 000000006C2C: 038D8D3D
	v_add_f32_e32 v198, v62, v198                              // 000000006C30: 038D8D3E
	v_add_f32_e32 v198, v63, v198                              // 000000006C34: 038D8D3F
	v_add_f32_e32 v198, v64, v198                              // 000000006C38: 038D8D40
	v_add_f32_e32 v198, v65, v198                              // 000000006C3C: 038D8D41
	v_add_f32_e32 v198, v66, v198                              // 000000006C40: 038D8D42
	v_add_f32_e32 v198, v67, v198                              // 000000006C44: 038D8D43
	v_add_f32_e32 v198, v68, v198                              // 000000006C48: 038D8D44
	v_add_f32_e32 v198, v69, v198                              // 000000006C4C: 038D8D45
	v_add_f32_e32 v198, v70, v198                              // 000000006C50: 038D8D46
	v_add_f32_e32 v198, v71, v198                              // 000000006C54: 038D8D47
	v_add_f32_e32 v198, v72, v198                              // 000000006C58: 038D8D48
	v_add_f32_e32 v198, v73, v198                              // 000000006C5C: 038D8D49
	v_add_f32_e32 v198, v74, v198                              // 000000006C60: 038D8D4A
	v_add_f32_e32 v198, v75, v198                              // 000000006C64: 038D8D4B
	v_add_f32_e32 v198, v76, v198                              // 000000006C68: 038D8D4C
	v_add_f32_e32 v198, v77, v198                              // 000000006C6C: 038D8D4D
	v_add_f32_e32 v198, v78, v198                              // 000000006C70: 038D8D4E
	v_add_f32_e32 v198, v79, v198                              // 000000006C74: 038D8D4F
	v_add_f32_e32 v198, v80, v198                              // 000000006C78: 038D8D50
	v_add_f32_e32 v198, v81, v198                              // 000000006C7C: 038D8D51
	v_add_f32_e32 v198, v82, v198                              // 000000006C80: 038D8D52
	v_add_f32_e32 v198, v83, v198                              // 000000006C84: 038D8D53
	v_add_f32_e32 v198, v84, v198                              // 000000006C88: 038D8D54
	v_add_f32_e32 v198, v85, v198                              // 000000006C8C: 038D8D55
	v_add_f32_e32 v198, v86, v198                              // 000000006C90: 038D8D56
	v_add_f32_e32 v198, v87, v198                              // 000000006C94: 038D8D57
	v_add_f32_e32 v198, v88, v198                              // 000000006C98: 038D8D58
	v_add_f32_e32 v198, v89, v198                              // 000000006C9C: 038D8D59
	v_add_f32_e32 v198, v90, v198                              // 000000006CA0: 038D8D5A
	v_add_f32_e32 v198, v91, v198                              // 000000006CA4: 038D8D5B
	v_add_f32_e32 v198, v92, v198                              // 000000006CA8: 038D8D5C
	v_add_f32_e32 v198, v93, v198                              // 000000006CAC: 038D8D5D
	v_add_f32_e32 v198, v94, v198                              // 000000006CB0: 038D8D5E
	v_add_f32_e32 v198, v95, v198                              // 000000006CB4: 038D8D5F
	v_add_f32_e32 v198, v96, v198                              // 000000006CB8: 038D8D60
	v_add_f32_e32 v198, v97, v198                              // 000000006CBC: 038D8D61
	v_add_f32_e32 v198, v98, v198                              // 000000006CC0: 038D8D62
	v_add_f32_e32 v198, v99, v198                              // 000000006CC4: 038D8D63
	v_add_f32_e32 v198, v100, v198                             // 000000006CC8: 038D8D64
	v_add_f32_e32 v198, v101, v198                             // 000000006CCC: 038D8D65
	v_add_f32_e32 v198, v102, v198                             // 000000006CD0: 038D8D66
	v_add_f32_e32 v198, v103, v198                             // 000000006CD4: 038D8D67
	v_add_f32_e32 v198, v104, v198                             // 000000006CD8: 038D8D68
	v_add_f32_e32 v198, v105, v198                             // 000000006CDC: 038D8D69
	v_add_f32_e32 v198, v106, v198                             // 000000006CE0: 038D8D6A
	v_add_f32_e32 v198, v107, v198                             // 000000006CE4: 038D8D6B
	v_add_f32_e32 v198, v108, v198                             // 000000006CE8: 038D8D6C
	v_add_f32_e32 v198, v109, v198                             // 000000006CEC: 038D8D6D
	v_add_f32_e32 v198, v110, v198                             // 000000006CF0: 038D8D6E
	v_add_f32_e32 v198, v111, v198                             // 000000006CF4: 038D8D6F
	v_add_f32_e32 v198, v112, v198                             // 000000006CF8: 038D8D70
	v_add_f32_e32 v198, v113, v198                             // 000000006CFC: 038D8D71
	v_add_f32_e32 v198, v114, v198                             // 000000006D00: 038D8D72
	v_add_f32_e32 v198, v115, v198                             // 000000006D04: 038D8D73
	v_add_f32_e32 v198, v116, v198                             // 000000006D08: 038D8D74
	v_add_f32_e32 v198, v117, v198                             // 000000006D0C: 038D8D75
	v_add_f32_e32 v198, v118, v198                             // 000000006D10: 038D8D76
	v_add_f32_e32 v198, v119, v198                             // 000000006D14: 038D8D77
	v_add_f32_e32 v198, v120, v198                             // 000000006D18: 038D8D78
	v_add_f32_e32 v198, v121, v198                             // 000000006D1C: 038D8D79
	v_add_f32_e32 v198, v122, v198                             // 000000006D20: 038D8D7A
	v_add_f32_e32 v198, v123, v198                             // 000000006D24: 038D8D7B
	v_mul_f32_e32 v124, v196, v124                             // 000000006D28: 0AF8F9C4
	v_mul_f32_e32 v125, v196, v125                             // 000000006D2C: 0AFAFBC4
	v_mul_f32_e32 v126, v196, v126                             // 000000006D30: 0AFCFDC4
	v_mul_f32_e32 v127, v196, v127                             // 000000006D34: 0AFEFFC4
	v_mul_f32_e32 v128, v196, v128                             // 000000006D38: 0B0101C4
	v_mul_f32_e32 v129, v196, v129                             // 000000006D3C: 0B0303C4
	v_mul_f32_e32 v130, v196, v130                             // 000000006D40: 0B0505C4
	v_mul_f32_e32 v131, v196, v131                             // 000000006D44: 0B0707C4
	v_mul_f32_e32 v132, v196, v132                             // 000000006D48: 0B0909C4
	v_mul_f32_e32 v133, v196, v133                             // 000000006D4C: 0B0B0BC4
	v_mul_f32_e32 v134, v196, v134                             // 000000006D50: 0B0D0DC4
	v_mul_f32_e32 v135, v196, v135                             // 000000006D54: 0B0F0FC4
	v_mul_f32_e32 v136, v196, v136                             // 000000006D58: 0B1111C4
	v_mul_f32_e32 v137, v196, v137                             // 000000006D5C: 0B1313C4
	v_mul_f32_e32 v138, v196, v138                             // 000000006D60: 0B1515C4
	v_mul_f32_e32 v139, v196, v139                             // 000000006D64: 0B1717C4
	v_mul_f32_e32 v140, v196, v140                             // 000000006D68: 0B1919C4
	v_mul_f32_e32 v141, v196, v141                             // 000000006D6C: 0B1B1BC4
	v_mul_f32_e32 v142, v196, v142                             // 000000006D70: 0B1D1DC4
	v_mul_f32_e32 v143, v196, v143                             // 000000006D74: 0B1F1FC4
	v_mul_f32_e32 v144, v196, v144                             // 000000006D78: 0B2121C4
	v_mul_f32_e32 v145, v196, v145                             // 000000006D7C: 0B2323C4
	v_mul_f32_e32 v146, v196, v146                             // 000000006D80: 0B2525C4
	v_mul_f32_e32 v147, v196, v147                             // 000000006D84: 0B2727C4
	v_mul_f32_e32 v148, v196, v148                             // 000000006D88: 0B2929C4
	v_mul_f32_e32 v149, v196, v149                             // 000000006D8C: 0B2B2BC4
	v_mul_f32_e32 v150, v196, v150                             // 000000006D90: 0B2D2DC4
	v_mul_f32_e32 v151, v196, v151                             // 000000006D94: 0B2F2FC4
	v_mul_f32_e32 v152, v196, v152                             // 000000006D98: 0B3131C4
	v_mul_f32_e32 v153, v196, v153                             // 000000006D9C: 0B3333C4
	v_mul_f32_e32 v154, v196, v154                             // 000000006DA0: 0B3535C4
	v_mul_f32_e32 v155, v196, v155                             // 000000006DA4: 0B3737C4
	v_mul_f32_e32 v156, v196, v156                             // 000000006DA8: 0B3939C4
	v_mul_f32_e32 v157, v196, v157                             // 000000006DAC: 0B3B3BC4
	v_mul_f32_e32 v158, v196, v158                             // 000000006DB0: 0B3D3DC4
	v_mul_f32_e32 v159, v196, v159                             // 000000006DB4: 0B3F3FC4
	v_mul_f32_e32 v160, v196, v160                             // 000000006DB8: 0B4141C4
	v_mul_f32_e32 v161, v196, v161                             // 000000006DBC: 0B4343C4
	v_mul_f32_e32 v162, v196, v162                             // 000000006DC0: 0B4545C4
	v_mul_f32_e32 v163, v196, v163                             // 000000006DC4: 0B4747C4
	v_mul_f32_e32 v164, v196, v164                             // 000000006DC8: 0B4949C4
	v_mul_f32_e32 v165, v196, v165                             // 000000006DCC: 0B4B4BC4
	v_mul_f32_e32 v166, v196, v166                             // 000000006DD0: 0B4D4DC4
	v_mul_f32_e32 v167, v196, v167                             // 000000006DD4: 0B4F4FC4
	v_mul_f32_e32 v168, v196, v168                             // 000000006DD8: 0B5151C4
	v_mul_f32_e32 v169, v196, v169                             // 000000006DDC: 0B5353C4
	v_mul_f32_e32 v170, v196, v170                             // 000000006DE0: 0B5555C4
	v_mul_f32_e32 v171, v196, v171                             // 000000006DE4: 0B5757C4
	v_mul_f32_e32 v172, v196, v172                             // 000000006DE8: 0B5959C4
	v_mul_f32_e32 v173, v196, v173                             // 000000006DEC: 0B5B5BC4
	v_mul_f32_e32 v174, v196, v174                             // 000000006DF0: 0B5D5DC4
	v_mul_f32_e32 v175, v196, v175                             // 000000006DF4: 0B5F5FC4
	v_mul_f32_e32 v176, v196, v176                             // 000000006DF8: 0B6161C4
	v_mul_f32_e32 v177, v196, v177                             // 000000006DFC: 0B6363C4
	v_mul_f32_e32 v178, v196, v178                             // 000000006E00: 0B6565C4
	v_mul_f32_e32 v179, v196, v179                             // 000000006E04: 0B6767C4
	v_mul_f32_e32 v180, v196, v180                             // 000000006E08: 0B6969C4
	v_mul_f32_e32 v181, v196, v181                             // 000000006E0C: 0B6B6BC4
	v_mul_f32_e32 v182, v196, v182                             // 000000006E10: 0B6D6DC4
	v_mul_f32_e32 v183, v196, v183                             // 000000006E14: 0B6F6FC4
	v_mul_f32_e32 v184, v196, v184                             // 000000006E18: 0B7171C4
	v_mul_f32_e32 v185, v196, v185                             // 000000006E1C: 0B7373C4
	v_mul_f32_e32 v186, v196, v186                             // 000000006E20: 0B7575C4
	v_mul_f32_e32 v187, v196, v187                             // 000000006E24: 0B7777C4
	v_mov_b32_e32 v197, v196                                   // 000000006E28: 7F8A03C4
	s_barrier                                                  // 000000006E2C: BF8A0000
	v_cvt_pk_fp8_f32 v60, v60, v61                             // 000000006E30: D2A2003C 00027B3C
	v_cvt_pk_fp8_f32 v60, v62, v63 op_sel:[0,0,1]              // 000000006E38: D2A2403C 00027F3E
	v_cvt_pk_fp8_f32 v61, v64, v65                             // 000000006E40: D2A2003D 00028340
	v_cvt_pk_fp8_f32 v61, v66, v67 op_sel:[0,0,1]              // 000000006E48: D2A2403D 00028742
	v_cvt_pk_fp8_f32 v62, v68, v69                             // 000000006E50: D2A2003E 00028B44
	v_cvt_pk_fp8_f32 v62, v70, v71 op_sel:[0,0,1]              // 000000006E58: D2A2403E 00028F46
	v_cvt_pk_fp8_f32 v63, v72, v73                             // 000000006E60: D2A2003F 00029348
	v_cvt_pk_fp8_f32 v63, v74, v75 op_sel:[0,0,1]              // 000000006E68: D2A2403F 0002974A
	v_cvt_pk_fp8_f32 v64, v76, v77                             // 000000006E70: D2A20040 00029B4C
	v_cvt_pk_fp8_f32 v64, v78, v79 op_sel:[0,0,1]              // 000000006E78: D2A24040 00029F4E
	v_cvt_pk_fp8_f32 v65, v80, v81                             // 000000006E80: D2A20041 0002A350
	v_cvt_pk_fp8_f32 v65, v82, v83 op_sel:[0,0,1]              // 000000006E88: D2A24041 0002A752
	v_cvt_pk_fp8_f32 v66, v84, v85                             // 000000006E90: D2A20042 0002AB54
	v_cvt_pk_fp8_f32 v66, v86, v87 op_sel:[0,0,1]              // 000000006E98: D2A24042 0002AF56
	v_cvt_pk_fp8_f32 v67, v88, v89                             // 000000006EA0: D2A20043 0002B358
	v_cvt_pk_fp8_f32 v67, v90, v91 op_sel:[0,0,1]              // 000000006EA8: D2A24043 0002B75A
	v_cvt_pk_fp8_f32 v68, v92, v93                             // 000000006EB0: D2A20044 0002BB5C
	v_cvt_pk_fp8_f32 v68, v94, v95 op_sel:[0,0,1]              // 000000006EB8: D2A24044 0002BF5E
	v_cvt_pk_fp8_f32 v69, v96, v97                             // 000000006EC0: D2A20045 0002C360
	v_cvt_pk_fp8_f32 v69, v98, v99 op_sel:[0,0,1]              // 000000006EC8: D2A24045 0002C762
	v_cvt_pk_fp8_f32 v70, v100, v101                           // 000000006ED0: D2A20046 0002CB64
	v_cvt_pk_fp8_f32 v70, v102, v103 op_sel:[0,0,1]            // 000000006ED8: D2A24046 0002CF66
	v_cvt_pk_fp8_f32 v71, v104, v105                           // 000000006EE0: D2A20047 0002D368
	v_cvt_pk_fp8_f32 v71, v106, v107 op_sel:[0,0,1]            // 000000006EE8: D2A24047 0002D76A
	v_cvt_pk_fp8_f32 v72, v108, v109                           // 000000006EF0: D2A20048 0002DB6C
	v_cvt_pk_fp8_f32 v72, v110, v111 op_sel:[0,0,1]            // 000000006EF8: D2A24048 0002DF6E
	v_cvt_pk_fp8_f32 v73, v112, v113                           // 000000006F00: D2A20049 0002E370
	v_cvt_pk_fp8_f32 v73, v114, v115 op_sel:[0,0,1]            // 000000006F08: D2A24049 0002E772
	v_cvt_pk_fp8_f32 v74, v116, v117                           // 000000006F10: D2A2004A 0002EB74
	v_cvt_pk_fp8_f32 v74, v118, v119 op_sel:[0,0,1]            // 000000006F18: D2A2404A 0002EF76
	v_cvt_pk_fp8_f32 v75, v120, v121                           // 000000006F20: D2A2004B 0002F378
	v_cvt_pk_fp8_f32 v75, v122, v123 op_sel:[0,0,1]            // 000000006F28: D2A2404B 0002F77A
	s_barrier                                                  // 000000006F30: BF8A0000
	s_waitcnt vmcnt(0)                                         // 000000006F34: BF8C0F70
	s_waitcnt lgkmcnt(8)                                       // 000000006F38: BF8CC87F
	s_setprio 1                                                // 000000006F3C: BF8F0001
	s_barrier                                                  // 000000006F40: BF8A0000
	v_mfma_f32_32x32x64_f8f6f4 v[124:139], v[28:35], v[60:67], v[124:139]// 000000006F44: D3AE007C 05F2791C
	ds_read_b64_tr_b8 v[52:53], v227 offset:24992              // 000000006F4C: D9C461A0 340000E3
	ds_read_b64_tr_b8 v[54:55], v227 offset:25248              // 000000006F54: D9C462A0 360000E3
	ds_read_b64_tr_b8 v[56:57], v227 offset:25504              // 000000006F5C: D9C463A0 380000E3
	ds_read_b64_tr_b8 v[58:59], v227 offset:25760              // 000000006F64: D9C464A0 3A0000E3
	s_waitcnt lgkmcnt(8)                                       // 000000006F6C: BF8CC87F
	v_mfma_f32_32x32x64_f8f6f4 v[124:139], v[36:43], v[68:75], v[124:139]// 000000006F70: D3AE007C 05F28924
	ds_read_b64_tr_b8 v[28:29], v227 offset:16704              // 000000006F78: D9C44140 1C0000E3
	ds_read_b64_tr_b8 v[30:31], v227 offset:16960              // 000000006F80: D9C44240 1E0000E3
	ds_read_b64_tr_b8 v[32:33], v227 offset:17216              // 000000006F88: D9C44340 200000E3
	ds_read_b64_tr_b8 v[34:35], v227 offset:17472              // 000000006F90: D9C44440 220000E3
	s_waitcnt lgkmcnt(8)                                       // 000000006F98: BF8CC87F
	v_mfma_f32_32x32x64_f8f6f4 v[140:155], v[44:51], v[60:67], v[140:155]// 000000006F9C: D3AE008C 0632792C
	ds_read_b64_tr_b8 v[36:37], v227 offset:25024              // 000000006FA4: D9C461C0 240000E3
	ds_read_b64_tr_b8 v[38:39], v227 offset:25280              // 000000006FAC: D9C462C0 260000E3
	ds_read_b64_tr_b8 v[40:41], v227 offset:25536              // 000000006FB4: D9C463C0 280000E3
	ds_read_b64_tr_b8 v[42:43], v227 offset:25792              // 000000006FBC: D9C464C0 2A0000E3
	s_waitcnt lgkmcnt(8)                                       // 000000006FC4: BF8CC87F
	v_mfma_f32_32x32x64_f8f6f4 v[140:155], v[52:59], v[68:75], v[140:155]// 000000006FC8: D3AE008C 06328934
	ds_read_b64_tr_b8 v[44:45], v227 offset:16736              // 000000006FD0: D9C44160 2C0000E3
	ds_read_b64_tr_b8 v[46:47], v227 offset:16992              // 000000006FD8: D9C44260 2E0000E3
	ds_read_b64_tr_b8 v[48:49], v227 offset:17248              // 000000006FE0: D9C44360 300000E3
	ds_read_b64_tr_b8 v[50:51], v227 offset:17504              // 000000006FE8: D9C44460 320000E3
	s_waitcnt lgkmcnt(8)                                       // 000000006FF0: BF8CC87F
	v_mfma_f32_32x32x64_f8f6f4 v[156:171], v[28:35], v[60:67], v[156:171]// 000000006FF4: D3AE009C 0672791C
	ds_read_b64_tr_b8 v[52:53], v227 offset:25056              // 000000006FFC: D9C461E0 340000E3
	ds_read_b64_tr_b8 v[54:55], v227 offset:25312              // 000000007004: D9C462E0 360000E3
	ds_read_b64_tr_b8 v[56:57], v227 offset:25568              // 00000000700C: D9C463E0 380000E3
	ds_read_b64_tr_b8 v[58:59], v227 offset:25824              // 000000007014: D9C464E0 3A0000E3
	s_waitcnt lgkmcnt(8)                                       // 00000000701C: BF8CC87F
	v_mfma_f32_32x32x64_f8f6f4 v[156:171], v[36:43], v[68:75], v[156:171]// 000000007020: D3AE009C 06728924
	ds_read_b128 v[28:31], v226                                // 000000007028: D9FE0000 1C0000E2
	ds_read_b128 v[32:35], v226 offset:32                      // 000000007030: D9FE0020 200000E2
	s_waitcnt lgkmcnt(6)                                       // 000000007038: BF8CC67F
	v_mfma_f32_32x32x64_f8f6f4 v[172:187], v[44:51], v[60:67], v[172:187]// 00000000703C: D3AE00AC 06B2792C
	ds_read_b128 v[36:39], v226 offset:4160                    // 000000007044: D9FE1040 240000E2
	ds_read_b128 v[40:43], v226 offset:4192                    // 00000000704C: D9FE1060 280000E2
	s_waitcnt lgkmcnt(4)                                       // 000000007054: BF8CC47F
	v_mfma_f32_32x32x64_f8f6f4 v[172:187], v[52:59], v[68:75], v[172:187]// 000000007058: D3AE00AC 06B28934
	ds_read_b128 v[44:47], v226 offset:8320                    // 000000007060: D9FE2080 2C0000E2
	ds_read_b128 v[48:51], v226 offset:8352                    // 000000007068: D9FE20A0 300000E2
	s_addk_i32 s72, 0x80                                       // 000000007070: B7480080
	s_branch label_0C00                                        // 000000007074: BF82F8E2

0000000000007078 <label_131E>:
	s_cmp_lt_i32 s72, s89                                      // 000000007078: BF045948
	s_cbranch_scc0 label_1A3D                                  // 00000000707C: BF84071D
	s_waitcnt lgkmcnt(4)                                       // 000000007080: BF8CC47F
	v_mfma_f32_32x32x64_f8f6f4 v[60:75], v[28:35], v[4:11], 0  // 000000007084: D3AE003C 0202091C
	v_mul_i32_i24_dpp v192, v190, v235 quad_perm:[0,0,0,0] row_mask:0xf bank_mask:0xf// 00000000708C: 0D81D6FA FF0000BE
	v_mul_i32_i24_dpp v193, v190, v235 quad_perm:[1,1,1,1] row_mask:0xf bank_mask:0xf// 000000007094: 0D83D6FA FF0055BE
	v_mul_i32_i24_dpp v194, v190, v235 quad_perm:[2,2,2,2] row_mask:0xf bank_mask:0xf// 00000000709C: 0D85D6FA FF00AABE
	v_mul_i32_i24_dpp v195, v190, v235 quad_perm:[3,3,3,3] row_mask:0xf bank_mask:0xf// 0000000070A4: 0D87D6FA FF00FFBE
	v_add_u32_e32 v222, v221, v192                             // 0000000070AC: 69BD81DD
	v_add_u32_e32 v223, v221, v193                             // 0000000070B0: 69BF83DD
	v_add_u32_e32 v224, v221, v194                             // 0000000070B4: 69C185DD
	v_add_u32_e32 v225, v221, v195                             // 0000000070B8: 69C387DD
	ds_read_b128 v[52:55], v226 offset:512                     // 0000000070BC: D9FE0200 340000E2
	ds_read_b128 v[56:59], v226 offset:544                     // 0000000070C4: D9FE0220 380000E2
	s_waitcnt lgkmcnt(4)                                       // 0000000070CC: BF8CC47F
	v_mfma_f32_32x32x64_f8f6f4 v[60:75], v[36:43], v[12:19], v[60:75]// 0000000070D0: D3AE003C 04F21924
	s_add_u32 m0, s94, 0x4100                                  // 0000000070D8: 807CFF5E 00004100
	buffer_load_dwordx4 v222, s[12:15], 0 offen lds            // 0000000070E0: E05D1000 800300DE
	ds_read_b128 v[28:31], v226 offset:4672                    // 0000000070E8: D9FE1240 1C0000E2
	ds_read_b128 v[32:35], v226 offset:4704                    // 0000000070F0: D9FE1260 200000E2
	s_waitcnt lgkmcnt(4)                                       // 0000000070F8: BF8CC47F
	v_mfma_f32_32x32x64_f8f6f4 v[60:75], v[44:51], v[20:27], v[60:75]// 0000000070FC: D3AE003C 04F2292C
	s_add_u32 m0, s94, 0x4510                                  // 000000007104: 807CFF5E 00004510
	buffer_load_dwordx4 v223, s[12:15], 0 offen lds            // 00000000710C: E05D1000 800300DF
	ds_read_b128 v[36:39], v226 offset:8832                    // 000000007114: D9FE2280 240000E2
	ds_read_b128 v[40:43], v226 offset:8864                    // 00000000711C: D9FE22A0 280000E2
	s_waitcnt lgkmcnt(4)                                       // 000000007124: BF8CC47F
	v_mfma_f32_32x32x64_f8f6f4 v[76:91], v[52:59], v[4:11], 0  // 000000007128: D3AE004C 02020934
	s_add_u32 m0, s94, 0x4920                                  // 000000007130: 807CFF5E 00004920
	buffer_load_dwordx4 v224, s[12:15], 0 offen lds            // 000000007138: E05D1000 800300E0
	ds_read_b128 v[44:47], v226 offset:12480                   // 000000007140: D9FE30C0 2C0000E2
	ds_read_b128 v[48:51], v226 offset:12512                   // 000000007148: D9FE30E0 300000E2
	s_waitcnt lgkmcnt(4)                                       // 000000007150: BF8CC47F
	v_mfma_f32_32x32x64_f8f6f4 v[76:91], v[28:35], v[12:19], v[76:91]// 000000007154: D3AE004C 0532191C
	s_add_u32 m0, s94, 0x4d30                                  // 00000000715C: 807CFF5E 00004D30
	buffer_load_dwordx4 v225, s[12:15], 0 offen lds            // 000000007164: E05D1000 800300E1
	ds_read_b128 v[52:55], v226 offset:16640                   // 00000000716C: D9FE4100 340000E2
	ds_read_b128 v[56:59], v226 offset:16672                   // 000000007174: D9FE4120 380000E2
	s_waitcnt lgkmcnt(4)                                       // 00000000717C: BF8CC47F
	v_mfma_f32_32x32x64_f8f6f4 v[76:91], v[36:43], v[20:27], v[76:91]// 000000007180: D3AE004C 05322924
	buffer_load_dword v189, v217, s[44:47], 0 offen            // 000000007188: E0501000 800BBDD9
	ds_read_b128 v[28:31], v226 offset:20800                   // 000000007190: D9FE5140 1C0000E2
	ds_read_b128 v[32:35], v226 offset:20832                   // 000000007198: D9FE5160 200000E2
	s_waitcnt lgkmcnt(4)                                       // 0000000071A0: BF8CC47F
	v_mfma_f32_32x32x64_f8f6f4 v[92:107], v[44:51], v[4:11], 0 // 0000000071A4: D3AE005C 0202092C
	buffer_load_dword v190, v217, s[44:47], 0 offen offset:512 // 0000000071AC: E0501200 800BBED9
	v_add_u32_e32 v217, 0x400, v217                            // 0000000071B4: 69B3B2FF 00000400
	ds_read_b128 v[36:39], v226 offset:12992                   // 0000000071BC: D9FE32C0 240000E2
	ds_read_b128 v[40:43], v226 offset:13024                   // 0000000071C4: D9FE32E0 280000E2
	s_waitcnt lgkmcnt(4)                                       // 0000000071CC: BF8CC47F
	v_mfma_f32_32x32x64_f8f6f4 v[92:107], v[52:59], v[12:19], v[92:107]// 0000000071D0: D3AE005C 05721934
	ds_read_b128 v[44:47], v226 offset:17152                   // 0000000071D8: D9FE4300 2C0000E2
	ds_read_b128 v[48:51], v226 offset:17184                   // 0000000071E0: D9FE4320 300000E2
	s_waitcnt lgkmcnt(4)                                       // 0000000071E8: BF8CC47F
	v_mfma_f32_32x32x64_f8f6f4 v[92:107], v[28:35], v[20:27], v[92:107]// 0000000071EC: D3AE005C 0572291C
	ds_read_b128 v[52:55], v226 offset:21312                   // 0000000071F4: D9FE5340 340000E2
	ds_read_b128 v[56:59], v226 offset:21344                   // 0000000071FC: D9FE5360 380000E2
	s_waitcnt lgkmcnt(4)                                       // 000000007204: BF8CC47F
	v_mfma_f32_32x32x64_f8f6f4 v[108:123], v[36:43], v[4:11], 0// 000000007208: D3AE006C 02020924
	ds_read_b64_tr_b8 v[28:29], v227                           // 000000007210: D9C40000 1C0000E3
	ds_read_b64_tr_b8 v[30:31], v227 offset:256                // 000000007218: D9C40100 1E0000E3
	ds_read_b64_tr_b8 v[32:33], v227 offset:512                // 000000007220: D9C40200 200000E3
	ds_read_b64_tr_b8 v[34:35], v227 offset:768                // 000000007228: D9C40300 220000E3
	s_waitcnt lgkmcnt(6)                                       // 000000007230: BF8CC67F
	v_mfma_f32_32x32x64_f8f6f4 v[108:123], v[44:51], v[12:19], v[108:123]// 000000007234: D3AE006C 05B2192C
	ds_read_b64_tr_b8 v[36:37], v227 offset:8320               // 00000000723C: D9C42080 240000E3
	ds_read_b64_tr_b8 v[38:39], v227 offset:8576               // 000000007244: D9C42180 260000E3
	ds_read_b64_tr_b8 v[40:41], v227 offset:8832               // 00000000724C: D9C42280 280000E3
	ds_read_b64_tr_b8 v[42:43], v227 offset:9088               // 000000007254: D9C42380 2A0000E3
	s_waitcnt lgkmcnt(8)                                       // 00000000725C: BF8CC87F
	v_mfma_f32_32x32x64_f8f6f4 v[108:123], v[52:59], v[20:27], v[108:123]// 000000007260: D3AE006C 05B22934
	ds_read_b64_tr_b8 v[44:45], v227 offset:32                 // 000000007268: D9C40020 2C0000E3
	ds_read_b64_tr_b8 v[46:47], v227 offset:288                // 000000007270: D9C40120 2E0000E3
	ds_read_b64_tr_b8 v[48:49], v227 offset:544                // 000000007278: D9C40220 300000E3
	ds_read_b64_tr_b8 v[50:51], v227 offset:800                // 000000007280: D9C40320 320000E3
	s_nop 5                                                    // 000000007288: BF800005
	s_barrier                                                  // 00000000728C: BF8A0000
	s_setprio 0                                                // 000000007290: BF8F0000
	s_barrier                                                  // 000000007294: BF8A0000
	v_add_u32_e32 v192, s72, v203                              // 000000007298: 69819648
	v_add_u32_e32 v193, 0, v192                                // 00000000729C: 69838080
	v_cmp_lt_i32_e32 vcc, v193, v202                           // 0000000072A0: 7D8395C1
	s_nop 0                                                    // 0000000072A4: BF800000
	v_cndmask_b32_e32 v60, v205, v60, vcc                      // 0000000072A8: 007879CD
	v_add_u32_e32 v193, 1, v192                                // 0000000072AC: 69838081
	v_cmp_lt_i32_e32 vcc, v193, v202                           // 0000000072B0: 7D8395C1
	s_nop 0                                                    // 0000000072B4: BF800000
	v_cndmask_b32_e32 v61, v205, v61, vcc                      // 0000000072B8: 007A7BCD
	v_add_u32_e32 v193, 2, v192                                // 0000000072BC: 69838082
	v_cmp_lt_i32_e32 vcc, v193, v202                           // 0000000072C0: 7D8395C1
	s_nop 0                                                    // 0000000072C4: BF800000
	v_cndmask_b32_e32 v62, v205, v62, vcc                      // 0000000072C8: 007C7DCD
	v_add_u32_e32 v193, 3, v192                                // 0000000072CC: 69838083
	v_cmp_lt_i32_e32 vcc, v193, v202                           // 0000000072D0: 7D8395C1
	s_nop 0                                                    // 0000000072D4: BF800000
	v_cndmask_b32_e32 v63, v205, v63, vcc                      // 0000000072D8: 007E7FCD
	v_add_u32_e32 v193, 8, v192                                // 0000000072DC: 69838088
	v_cmp_lt_i32_e32 vcc, v193, v202                           // 0000000072E0: 7D8395C1
	s_nop 0                                                    // 0000000072E4: BF800000
	v_cndmask_b32_e32 v64, v205, v64, vcc                      // 0000000072E8: 008081CD
	v_add_u32_e32 v193, 9, v192                                // 0000000072EC: 69838089
	v_cmp_lt_i32_e32 vcc, v193, v202                           // 0000000072F0: 7D8395C1
	s_nop 0                                                    // 0000000072F4: BF800000
	v_cndmask_b32_e32 v65, v205, v65, vcc                      // 0000000072F8: 008283CD
	v_add_u32_e32 v193, 10, v192                               // 0000000072FC: 6983808A
	v_cmp_lt_i32_e32 vcc, v193, v202                           // 000000007300: 7D8395C1
	s_nop 0                                                    // 000000007304: BF800000
	v_cndmask_b32_e32 v66, v205, v66, vcc                      // 000000007308: 008485CD
	v_add_u32_e32 v193, 11, v192                               // 00000000730C: 6983808B
	v_cmp_lt_i32_e32 vcc, v193, v202                           // 000000007310: 7D8395C1
	s_nop 0                                                    // 000000007314: BF800000
	v_cndmask_b32_e32 v67, v205, v67, vcc                      // 000000007318: 008687CD
	v_add_u32_e32 v193, 16, v192                               // 00000000731C: 69838090
	v_cmp_lt_i32_e32 vcc, v193, v202                           // 000000007320: 7D8395C1
	s_nop 0                                                    // 000000007324: BF800000
	v_cndmask_b32_e32 v68, v205, v68, vcc                      // 000000007328: 008889CD
	v_add_u32_e32 v193, 17, v192                               // 00000000732C: 69838091
	v_cmp_lt_i32_e32 vcc, v193, v202                           // 000000007330: 7D8395C1
	s_nop 0                                                    // 000000007334: BF800000
	v_cndmask_b32_e32 v69, v205, v69, vcc                      // 000000007338: 008A8BCD
	v_add_u32_e32 v193, 18, v192                               // 00000000733C: 69838092
	v_cmp_lt_i32_e32 vcc, v193, v202                           // 000000007340: 7D8395C1
	s_nop 0                                                    // 000000007344: BF800000
	v_cndmask_b32_e32 v70, v205, v70, vcc                      // 000000007348: 008C8DCD
	v_add_u32_e32 v193, 19, v192                               // 00000000734C: 69838093
	v_cmp_lt_i32_e32 vcc, v193, v202                           // 000000007350: 7D8395C1
	s_nop 0                                                    // 000000007354: BF800000
	v_cndmask_b32_e32 v71, v205, v71, vcc                      // 000000007358: 008E8FCD
	v_add_u32_e32 v193, 24, v192                               // 00000000735C: 69838098
	v_cmp_lt_i32_e32 vcc, v193, v202                           // 000000007360: 7D8395C1
	s_nop 0                                                    // 000000007364: BF800000
	v_cndmask_b32_e32 v72, v205, v72, vcc                      // 000000007368: 009091CD
	v_add_u32_e32 v193, 25, v192                               // 00000000736C: 69838099
	v_cmp_lt_i32_e32 vcc, v193, v202                           // 000000007370: 7D8395C1
	s_nop 0                                                    // 000000007374: BF800000
	v_cndmask_b32_e32 v73, v205, v73, vcc                      // 000000007378: 009293CD
	v_add_u32_e32 v193, 26, v192                               // 00000000737C: 6983809A
	v_cmp_lt_i32_e32 vcc, v193, v202                           // 000000007380: 7D8395C1
	s_nop 0                                                    // 000000007384: BF800000
	v_cndmask_b32_e32 v74, v205, v74, vcc                      // 000000007388: 009495CD
	v_add_u32_e32 v193, 27, v192                               // 00000000738C: 6983809B
	v_cmp_lt_i32_e32 vcc, v193, v202                           // 000000007390: 7D8395C1
	s_nop 0                                                    // 000000007394: BF800000
	v_cndmask_b32_e32 v75, v205, v75, vcc                      // 000000007398: 009697CD
	v_add_u32_e32 v193, 32, v192                               // 00000000739C: 698380A0
	v_cmp_lt_i32_e32 vcc, v193, v202                           // 0000000073A0: 7D8395C1
	s_nop 0                                                    // 0000000073A4: BF800000
	v_cndmask_b32_e32 v76, v205, v76, vcc                      // 0000000073A8: 009899CD
	v_add_u32_e32 v193, 33, v192                               // 0000000073AC: 698380A1
	v_cmp_lt_i32_e32 vcc, v193, v202                           // 0000000073B0: 7D8395C1
	s_nop 0                                                    // 0000000073B4: BF800000
	v_cndmask_b32_e32 v77, v205, v77, vcc                      // 0000000073B8: 009A9BCD
	v_add_u32_e32 v193, 34, v192                               // 0000000073BC: 698380A2
	v_cmp_lt_i32_e32 vcc, v193, v202                           // 0000000073C0: 7D8395C1
	s_nop 0                                                    // 0000000073C4: BF800000
	v_cndmask_b32_e32 v78, v205, v78, vcc                      // 0000000073C8: 009C9DCD
	v_add_u32_e32 v193, 35, v192                               // 0000000073CC: 698380A3
	v_cmp_lt_i32_e32 vcc, v193, v202                           // 0000000073D0: 7D8395C1
	s_nop 0                                                    // 0000000073D4: BF800000
	v_cndmask_b32_e32 v79, v205, v79, vcc                      // 0000000073D8: 009E9FCD
	v_add_u32_e32 v193, 40, v192                               // 0000000073DC: 698380A8
	v_cmp_lt_i32_e32 vcc, v193, v202                           // 0000000073E0: 7D8395C1
	s_nop 0                                                    // 0000000073E4: BF800000
	v_cndmask_b32_e32 v80, v205, v80, vcc                      // 0000000073E8: 00A0A1CD
	v_add_u32_e32 v193, 41, v192                               // 0000000073EC: 698380A9
	v_cmp_lt_i32_e32 vcc, v193, v202                           // 0000000073F0: 7D8395C1
	s_nop 0                                                    // 0000000073F4: BF800000
	v_cndmask_b32_e32 v81, v205, v81, vcc                      // 0000000073F8: 00A2A3CD
	v_add_u32_e32 v193, 42, v192                               // 0000000073FC: 698380AA
	v_cmp_lt_i32_e32 vcc, v193, v202                           // 000000007400: 7D8395C1
	s_nop 0                                                    // 000000007404: BF800000
	v_cndmask_b32_e32 v82, v205, v82, vcc                      // 000000007408: 00A4A5CD
	v_add_u32_e32 v193, 43, v192                               // 00000000740C: 698380AB
	v_cmp_lt_i32_e32 vcc, v193, v202                           // 000000007410: 7D8395C1
	s_nop 0                                                    // 000000007414: BF800000
	v_cndmask_b32_e32 v83, v205, v83, vcc                      // 000000007418: 00A6A7CD
	v_add_u32_e32 v193, 48, v192                               // 00000000741C: 698380B0
	v_cmp_lt_i32_e32 vcc, v193, v202                           // 000000007420: 7D8395C1
	s_nop 0                                                    // 000000007424: BF800000
	v_cndmask_b32_e32 v84, v205, v84, vcc                      // 000000007428: 00A8A9CD
	v_add_u32_e32 v193, 49, v192                               // 00000000742C: 698380B1
	v_cmp_lt_i32_e32 vcc, v193, v202                           // 000000007430: 7D8395C1
	s_nop 0                                                    // 000000007434: BF800000
	v_cndmask_b32_e32 v85, v205, v85, vcc                      // 000000007438: 00AAABCD
	v_add_u32_e32 v193, 50, v192                               // 00000000743C: 698380B2
	v_cmp_lt_i32_e32 vcc, v193, v202                           // 000000007440: 7D8395C1
	s_nop 0                                                    // 000000007444: BF800000
	v_cndmask_b32_e32 v86, v205, v86, vcc                      // 000000007448: 00ACADCD
	v_add_u32_e32 v193, 51, v192                               // 00000000744C: 698380B3
	v_cmp_lt_i32_e32 vcc, v193, v202                           // 000000007450: 7D8395C1
	s_nop 0                                                    // 000000007454: BF800000
	v_cndmask_b32_e32 v87, v205, v87, vcc                      // 000000007458: 00AEAFCD
	v_add_u32_e32 v193, 56, v192                               // 00000000745C: 698380B8
	v_cmp_lt_i32_e32 vcc, v193, v202                           // 000000007460: 7D8395C1
	s_nop 0                                                    // 000000007464: BF800000
	v_cndmask_b32_e32 v88, v205, v88, vcc                      // 000000007468: 00B0B1CD
	v_add_u32_e32 v193, 57, v192                               // 00000000746C: 698380B9
	v_cmp_lt_i32_e32 vcc, v193, v202                           // 000000007470: 7D8395C1
	s_nop 0                                                    // 000000007474: BF800000
	v_cndmask_b32_e32 v89, v205, v89, vcc                      // 000000007478: 00B2B3CD
	v_add_u32_e32 v193, 58, v192                               // 00000000747C: 698380BA
	v_cmp_lt_i32_e32 vcc, v193, v202                           // 000000007480: 7D8395C1
	s_nop 0                                                    // 000000007484: BF800000
	v_cndmask_b32_e32 v90, v205, v90, vcc                      // 000000007488: 00B4B5CD
	v_add_u32_e32 v193, 59, v192                               // 00000000748C: 698380BB
	v_cmp_lt_i32_e32 vcc, v193, v202                           // 000000007490: 7D8395C1
	s_nop 0                                                    // 000000007494: BF800000
	v_cndmask_b32_e32 v91, v205, v91, vcc                      // 000000007498: 00B6B7CD
	v_add_u32_e32 v193, 64, v192                               // 00000000749C: 698380C0
	v_cmp_lt_i32_e32 vcc, v193, v202                           // 0000000074A0: 7D8395C1
	s_nop 0                                                    // 0000000074A4: BF800000
	v_cndmask_b32_e32 v92, v205, v92, vcc                      // 0000000074A8: 00B8B9CD
	v_add_u32_e32 v193, 0x41, v192                             // 0000000074AC: 698380FF 00000041
	v_cmp_lt_i32_e32 vcc, v193, v202                           // 0000000074B4: 7D8395C1
	s_nop 0                                                    // 0000000074B8: BF800000
	v_cndmask_b32_e32 v93, v205, v93, vcc                      // 0000000074BC: 00BABBCD
	v_add_u32_e32 v193, 0x42, v192                             // 0000000074C0: 698380FF 00000042
	v_cmp_lt_i32_e32 vcc, v193, v202                           // 0000000074C8: 7D8395C1
	s_nop 0                                                    // 0000000074CC: BF800000
	v_cndmask_b32_e32 v94, v205, v94, vcc                      // 0000000074D0: 00BCBDCD
	v_add_u32_e32 v193, 0x43, v192                             // 0000000074D4: 698380FF 00000043
	v_cmp_lt_i32_e32 vcc, v193, v202                           // 0000000074DC: 7D8395C1
	s_nop 0                                                    // 0000000074E0: BF800000
	v_cndmask_b32_e32 v95, v205, v95, vcc                      // 0000000074E4: 00BEBFCD
	v_add_u32_e32 v193, 0x48, v192                             // 0000000074E8: 698380FF 00000048
	v_cmp_lt_i32_e32 vcc, v193, v202                           // 0000000074F0: 7D8395C1
	s_nop 0                                                    // 0000000074F4: BF800000
	v_cndmask_b32_e32 v96, v205, v96, vcc                      // 0000000074F8: 00C0C1CD
	v_add_u32_e32 v193, 0x49, v192                             // 0000000074FC: 698380FF 00000049
	v_cmp_lt_i32_e32 vcc, v193, v202                           // 000000007504: 7D8395C1
	s_nop 0                                                    // 000000007508: BF800000
	v_cndmask_b32_e32 v97, v205, v97, vcc                      // 00000000750C: 00C2C3CD
	v_add_u32_e32 v193, 0x4a, v192                             // 000000007510: 698380FF 0000004A
	v_cmp_lt_i32_e32 vcc, v193, v202                           // 000000007518: 7D8395C1
	s_nop 0                                                    // 00000000751C: BF800000
	v_cndmask_b32_e32 v98, v205, v98, vcc                      // 000000007520: 00C4C5CD
	v_add_u32_e32 v193, 0x4b, v192                             // 000000007524: 698380FF 0000004B
	v_cmp_lt_i32_e32 vcc, v193, v202                           // 00000000752C: 7D8395C1
	s_nop 0                                                    // 000000007530: BF800000
	v_cndmask_b32_e32 v99, v205, v99, vcc                      // 000000007534: 00C6C7CD
	v_add_u32_e32 v193, 0x50, v192                             // 000000007538: 698380FF 00000050
	v_cmp_lt_i32_e32 vcc, v193, v202                           // 000000007540: 7D8395C1
	s_nop 0                                                    // 000000007544: BF800000
	v_cndmask_b32_e32 v100, v205, v100, vcc                    // 000000007548: 00C8C9CD
	v_add_u32_e32 v193, 0x51, v192                             // 00000000754C: 698380FF 00000051
	v_cmp_lt_i32_e32 vcc, v193, v202                           // 000000007554: 7D8395C1
	s_nop 0                                                    // 000000007558: BF800000
	v_cndmask_b32_e32 v101, v205, v101, vcc                    // 00000000755C: 00CACBCD
	v_add_u32_e32 v193, 0x52, v192                             // 000000007560: 698380FF 00000052
	v_cmp_lt_i32_e32 vcc, v193, v202                           // 000000007568: 7D8395C1
	s_nop 0                                                    // 00000000756C: BF800000
	v_cndmask_b32_e32 v102, v205, v102, vcc                    // 000000007570: 00CCCDCD
	v_add_u32_e32 v193, 0x53, v192                             // 000000007574: 698380FF 00000053
	v_cmp_lt_i32_e32 vcc, v193, v202                           // 00000000757C: 7D8395C1
	s_nop 0                                                    // 000000007580: BF800000
	v_cndmask_b32_e32 v103, v205, v103, vcc                    // 000000007584: 00CECFCD
	v_add_u32_e32 v193, 0x58, v192                             // 000000007588: 698380FF 00000058
	v_cmp_lt_i32_e32 vcc, v193, v202                           // 000000007590: 7D8395C1
	s_nop 0                                                    // 000000007594: BF800000
	v_cndmask_b32_e32 v104, v205, v104, vcc                    // 000000007598: 00D0D1CD
	v_add_u32_e32 v193, 0x59, v192                             // 00000000759C: 698380FF 00000059
	v_cmp_lt_i32_e32 vcc, v193, v202                           // 0000000075A4: 7D8395C1
	s_nop 0                                                    // 0000000075A8: BF800000
	v_cndmask_b32_e32 v105, v205, v105, vcc                    // 0000000075AC: 00D2D3CD
	v_add_u32_e32 v193, 0x5a, v192                             // 0000000075B0: 698380FF 0000005A
	v_cmp_lt_i32_e32 vcc, v193, v202                           // 0000000075B8: 7D8395C1
	s_nop 0                                                    // 0000000075BC: BF800000
	v_cndmask_b32_e32 v106, v205, v106, vcc                    // 0000000075C0: 00D4D5CD
	v_add_u32_e32 v193, 0x5b, v192                             // 0000000075C4: 698380FF 0000005B
	v_cmp_lt_i32_e32 vcc, v193, v202                           // 0000000075CC: 7D8395C1
	s_nop 0                                                    // 0000000075D0: BF800000
	v_cndmask_b32_e32 v107, v205, v107, vcc                    // 0000000075D4: 00D6D7CD
	v_add_u32_e32 v193, 0x60, v192                             // 0000000075D8: 698380FF 00000060
	v_cmp_lt_i32_e32 vcc, v193, v202                           // 0000000075E0: 7D8395C1
	s_nop 0                                                    // 0000000075E4: BF800000
	v_cndmask_b32_e32 v108, v205, v108, vcc                    // 0000000075E8: 00D8D9CD
	v_add_u32_e32 v193, 0x61, v192                             // 0000000075EC: 698380FF 00000061
	v_cmp_lt_i32_e32 vcc, v193, v202                           // 0000000075F4: 7D8395C1
	s_nop 0                                                    // 0000000075F8: BF800000
	v_cndmask_b32_e32 v109, v205, v109, vcc                    // 0000000075FC: 00DADBCD
	v_add_u32_e32 v193, 0x62, v192                             // 000000007600: 698380FF 00000062
	v_cmp_lt_i32_e32 vcc, v193, v202                           // 000000007608: 7D8395C1
	s_nop 0                                                    // 00000000760C: BF800000
	v_cndmask_b32_e32 v110, v205, v110, vcc                    // 000000007610: 00DCDDCD
	v_add_u32_e32 v193, 0x63, v192                             // 000000007614: 698380FF 00000063
	v_cmp_lt_i32_e32 vcc, v193, v202                           // 00000000761C: 7D8395C1
	s_nop 0                                                    // 000000007620: BF800000
	v_cndmask_b32_e32 v111, v205, v111, vcc                    // 000000007624: 00DEDFCD
	v_add_u32_e32 v193, 0x68, v192                             // 000000007628: 698380FF 00000068
	v_cmp_lt_i32_e32 vcc, v193, v202                           // 000000007630: 7D8395C1
	s_nop 0                                                    // 000000007634: BF800000
	v_cndmask_b32_e32 v112, v205, v112, vcc                    // 000000007638: 00E0E1CD
	v_add_u32_e32 v193, 0x69, v192                             // 00000000763C: 698380FF 00000069
	v_cmp_lt_i32_e32 vcc, v193, v202                           // 000000007644: 7D8395C1
	s_nop 0                                                    // 000000007648: BF800000
	v_cndmask_b32_e32 v113, v205, v113, vcc                    // 00000000764C: 00E2E3CD
	v_add_u32_e32 v193, 0x6a, v192                             // 000000007650: 698380FF 0000006A
	v_cmp_lt_i32_e32 vcc, v193, v202                           // 000000007658: 7D8395C1
	s_nop 0                                                    // 00000000765C: BF800000
	v_cndmask_b32_e32 v114, v205, v114, vcc                    // 000000007660: 00E4E5CD
	v_add_u32_e32 v193, 0x6b, v192                             // 000000007664: 698380FF 0000006B
	v_cmp_lt_i32_e32 vcc, v193, v202                           // 00000000766C: 7D8395C1
	s_nop 0                                                    // 000000007670: BF800000
	v_cndmask_b32_e32 v115, v205, v115, vcc                    // 000000007674: 00E6E7CD
	v_add_u32_e32 v193, 0x70, v192                             // 000000007678: 698380FF 00000070
	v_cmp_lt_i32_e32 vcc, v193, v202                           // 000000007680: 7D8395C1
	s_nop 0                                                    // 000000007684: BF800000
	v_cndmask_b32_e32 v116, v205, v116, vcc                    // 000000007688: 00E8E9CD
	v_add_u32_e32 v193, 0x71, v192                             // 00000000768C: 698380FF 00000071
	v_cmp_lt_i32_e32 vcc, v193, v202                           // 000000007694: 7D8395C1
	s_nop 0                                                    // 000000007698: BF800000
	v_cndmask_b32_e32 v117, v205, v117, vcc                    // 00000000769C: 00EAEBCD
	v_add_u32_e32 v193, 0x72, v192                             // 0000000076A0: 698380FF 00000072
	v_cmp_lt_i32_e32 vcc, v193, v202                           // 0000000076A8: 7D8395C1
	s_nop 0                                                    // 0000000076AC: BF800000
	v_cndmask_b32_e32 v118, v205, v118, vcc                    // 0000000076B0: 00ECEDCD
	v_add_u32_e32 v193, 0x73, v192                             // 0000000076B4: 698380FF 00000073
	v_cmp_lt_i32_e32 vcc, v193, v202                           // 0000000076BC: 7D8395C1
	s_nop 0                                                    // 0000000076C0: BF800000
	v_cndmask_b32_e32 v119, v205, v119, vcc                    // 0000000076C4: 00EEEFCD
	v_add_u32_e32 v193, 0x78, v192                             // 0000000076C8: 698380FF 00000078
	v_cmp_lt_i32_e32 vcc, v193, v202                           // 0000000076D0: 7D8395C1
	s_nop 0                                                    // 0000000076D4: BF800000
	v_cndmask_b32_e32 v120, v205, v120, vcc                    // 0000000076D8: 00F0F1CD
	v_add_u32_e32 v193, 0x79, v192                             // 0000000076DC: 698380FF 00000079
	v_cmp_lt_i32_e32 vcc, v193, v202                           // 0000000076E4: 7D8395C1
	s_nop 0                                                    // 0000000076E8: BF800000
	v_cndmask_b32_e32 v121, v205, v121, vcc                    // 0000000076EC: 00F2F3CD
	v_add_u32_e32 v193, 0x7a, v192                             // 0000000076F0: 698380FF 0000007A
	v_cmp_lt_i32_e32 vcc, v193, v202                           // 0000000076F8: 7D8395C1
	s_nop 0                                                    // 0000000076FC: BF800000
	v_cndmask_b32_e32 v122, v205, v122, vcc                    // 000000007700: 00F4F5CD
	v_add_u32_e32 v193, 0x7b, v192                             // 000000007704: 698380FF 0000007B
	v_cmp_lt_i32_e32 vcc, v193, v202                           // 00000000770C: 7D8395C1
	s_nop 0                                                    // 000000007710: BF800000
	v_cndmask_b32_e32 v123, v205, v123, vcc                    // 000000007714: 00F6F7CD
	v_mov_b32_e32 v201, v200                                   // 000000007718: 7F9203C8
	v_max3_f32 v201, v60, v61, v201                            // 00000000771C: D1D300C9 07267B3C
	v_max3_f32 v201, v62, v63, v201                            // 000000007724: D1D300C9 07267F3E
	v_max3_f32 v201, v64, v65, v201                            // 00000000772C: D1D300C9 07268340
	v_max3_f32 v201, v66, v67, v201                            // 000000007734: D1D300C9 07268742
	v_max3_f32 v201, v68, v69, v201                            // 00000000773C: D1D300C9 07268B44
	v_max3_f32 v201, v70, v71, v201                            // 000000007744: D1D300C9 07268F46
	v_max3_f32 v201, v72, v73, v201                            // 00000000774C: D1D300C9 07269348
	v_max3_f32 v201, v74, v75, v201                            // 000000007754: D1D300C9 0726974A
	v_max3_f32 v201, v76, v77, v201                            // 00000000775C: D1D300C9 07269B4C
	v_max3_f32 v201, v78, v79, v201                            // 000000007764: D1D300C9 07269F4E
	v_max3_f32 v201, v80, v81, v201                            // 00000000776C: D1D300C9 0726A350
	v_max3_f32 v201, v82, v83, v201                            // 000000007774: D1D300C9 0726A752
	v_max3_f32 v201, v84, v85, v201                            // 00000000777C: D1D300C9 0726AB54
	v_max3_f32 v201, v86, v87, v201                            // 000000007784: D1D300C9 0726AF56
	v_max3_f32 v201, v88, v89, v201                            // 00000000778C: D1D300C9 0726B358
	v_max3_f32 v201, v90, v91, v201                            // 000000007794: D1D300C9 0726B75A
	v_max3_f32 v201, v92, v93, v201                            // 00000000779C: D1D300C9 0726BB5C
	v_max3_f32 v201, v94, v95, v201                            // 0000000077A4: D1D300C9 0726BF5E
	v_max3_f32 v201, v96, v97, v201                            // 0000000077AC: D1D300C9 0726C360
	v_max3_f32 v201, v98, v99, v201                            // 0000000077B4: D1D300C9 0726C762
	v_max3_f32 v201, v100, v101, v201                          // 0000000077BC: D1D300C9 0726CB64
	v_max3_f32 v201, v102, v103, v201                          // 0000000077C4: D1D300C9 0726CF66
	v_max3_f32 v201, v104, v105, v201                          // 0000000077CC: D1D300C9 0726D368
	v_max3_f32 v201, v106, v107, v201                          // 0000000077D4: D1D300C9 0726D76A
	v_max3_f32 v201, v108, v109, v201                          // 0000000077DC: D1D300C9 0726DB6C
	v_max3_f32 v201, v110, v111, v201                          // 0000000077E4: D1D300C9 0726DF6E
	v_max3_f32 v201, v112, v113, v201                          // 0000000077EC: D1D300C9 0726E370
	v_max3_f32 v201, v114, v115, v201                          // 0000000077F4: D1D300C9 0726E772
	v_max3_f32 v201, v116, v117, v201                          // 0000000077FC: D1D300C9 0726EB74
	v_max3_f32 v201, v118, v119, v201                          // 000000007804: D1D300C9 0726EF76
	v_max3_f32 v201, v120, v121, v201                          // 00000000780C: D1D300C9 0726F378
	v_max3_f32 v201, v122, v123, v201                          // 000000007814: D1D300C9 0726F77A
	v_mov_b32_e32 v192, v201                                   // 00000000781C: 7F8003C9
	s_nop 1                                                    // 000000007820: BF800001
	s_nop 0                                                    // 000000007824: BF800000
	v_permlane32_swap_b32_e32 v192, v201                       // 000000007828: 7F80B5C9
	v_max_f32_e32 v201, v201, v192                             // 00000000782C: 179381C9
	v_mul_f32_e64 v192, -s54, v201                             // 000000007830: D10500C0 20039236
	v_mov_b32_e32 v193, v192                                   // 000000007838: 7F8203C0
	v_pk_fma_f32 v[60:61], v[60:61], s[54:55], v[192:193]      // 00000000783C: D3B0403C 1F006D3C
	v_pk_fma_f32 v[62:63], v[62:63], s[54:55], v[192:193]      // 000000007844: D3B0403E 1F006D3E
	v_pk_fma_f32 v[64:65], v[64:65], s[54:55], v[192:193]      // 00000000784C: D3B04040 1F006D40
	v_pk_fma_f32 v[66:67], v[66:67], s[54:55], v[192:193]      // 000000007854: D3B04042 1F006D42
	v_pk_fma_f32 v[68:69], v[68:69], s[54:55], v[192:193]      // 00000000785C: D3B04044 1F006D44
	v_pk_fma_f32 v[70:71], v[70:71], s[54:55], v[192:193]      // 000000007864: D3B04046 1F006D46
	v_pk_fma_f32 v[72:73], v[72:73], s[54:55], v[192:193]      // 00000000786C: D3B04048 1F006D48
	v_pk_fma_f32 v[74:75], v[74:75], s[54:55], v[192:193]      // 000000007874: D3B0404A 1F006D4A
	v_pk_fma_f32 v[76:77], v[76:77], s[54:55], v[192:193]      // 00000000787C: D3B0404C 1F006D4C
	v_pk_fma_f32 v[78:79], v[78:79], s[54:55], v[192:193]      // 000000007884: D3B0404E 1F006D4E
	v_pk_fma_f32 v[80:81], v[80:81], s[54:55], v[192:193]      // 00000000788C: D3B04050 1F006D50
	v_pk_fma_f32 v[82:83], v[82:83], s[54:55], v[192:193]      // 000000007894: D3B04052 1F006D52
	v_pk_fma_f32 v[84:85], v[84:85], s[54:55], v[192:193]      // 00000000789C: D3B04054 1F006D54
	v_pk_fma_f32 v[86:87], v[86:87], s[54:55], v[192:193]      // 0000000078A4: D3B04056 1F006D56
	v_pk_fma_f32 v[88:89], v[88:89], s[54:55], v[192:193]      // 0000000078AC: D3B04058 1F006D58
	v_pk_fma_f32 v[90:91], v[90:91], s[54:55], v[192:193]      // 0000000078B4: D3B0405A 1F006D5A
	v_pk_fma_f32 v[92:93], v[92:93], s[54:55], v[192:193]      // 0000000078BC: D3B0405C 1F006D5C
	v_pk_fma_f32 v[94:95], v[94:95], s[54:55], v[192:193]      // 0000000078C4: D3B0405E 1F006D5E
	v_pk_fma_f32 v[96:97], v[96:97], s[54:55], v[192:193]      // 0000000078CC: D3B04060 1F006D60
	v_pk_fma_f32 v[98:99], v[98:99], s[54:55], v[192:193]      // 0000000078D4: D3B04062 1F006D62
	v_pk_fma_f32 v[100:101], v[100:101], s[54:55], v[192:193]  // 0000000078DC: D3B04064 1F006D64
	v_pk_fma_f32 v[102:103], v[102:103], s[54:55], v[192:193]  // 0000000078E4: D3B04066 1F006D66
	v_pk_fma_f32 v[104:105], v[104:105], s[54:55], v[192:193]  // 0000000078EC: D3B04068 1F006D68
	v_pk_fma_f32 v[106:107], v[106:107], s[54:55], v[192:193]  // 0000000078F4: D3B0406A 1F006D6A
	v_pk_fma_f32 v[108:109], v[108:109], s[54:55], v[192:193]  // 0000000078FC: D3B0406C 1F006D6C
	v_pk_fma_f32 v[110:111], v[110:111], s[54:55], v[192:193]  // 000000007904: D3B0406E 1F006D6E
	v_pk_fma_f32 v[112:113], v[112:113], s[54:55], v[192:193]  // 00000000790C: D3B04070 1F006D70
	v_pk_fma_f32 v[114:115], v[114:115], s[54:55], v[192:193]  // 000000007914: D3B04072 1F006D72
	v_pk_fma_f32 v[116:117], v[116:117], s[54:55], v[192:193]  // 00000000791C: D3B04074 1F006D74
	v_pk_fma_f32 v[118:119], v[118:119], s[54:55], v[192:193]  // 000000007924: D3B04076 1F006D76
	v_pk_fma_f32 v[120:121], v[120:121], s[54:55], v[192:193]  // 00000000792C: D3B04078 1F006D78
	v_pk_fma_f32 v[122:123], v[122:123], s[54:55], v[192:193]  // 000000007934: D3B0407A 1F006D7A
	s_barrier                                                  // 00000000793C: BF8A0000
	v_exp_f32_e32 v60, v60                                     // 000000007940: 7E78413C
	v_exp_f32_e32 v61, v61                                     // 000000007944: 7E7A413D
	v_exp_f32_e32 v62, v62                                     // 000000007948: 7E7C413E
	v_exp_f32_e32 v63, v63                                     // 00000000794C: 7E7E413F
	v_exp_f32_e32 v64, v64                                     // 000000007950: 7E804140
	v_exp_f32_e32 v65, v65                                     // 000000007954: 7E824141
	v_exp_f32_e32 v66, v66                                     // 000000007958: 7E844142
	v_exp_f32_e32 v67, v67                                     // 00000000795C: 7E864143
	v_exp_f32_e32 v68, v68                                     // 000000007960: 7E884144
	v_exp_f32_e32 v69, v69                                     // 000000007964: 7E8A4145
	v_exp_f32_e32 v70, v70                                     // 000000007968: 7E8C4146
	v_exp_f32_e32 v71, v71                                     // 00000000796C: 7E8E4147
	v_exp_f32_e32 v72, v72                                     // 000000007970: 7E904148
	v_exp_f32_e32 v73, v73                                     // 000000007974: 7E924149
	v_exp_f32_e32 v74, v74                                     // 000000007978: 7E94414A
	v_exp_f32_e32 v75, v75                                     // 00000000797C: 7E96414B
	v_exp_f32_e32 v76, v76                                     // 000000007980: 7E98414C
	v_exp_f32_e32 v77, v77                                     // 000000007984: 7E9A414D
	v_exp_f32_e32 v78, v78                                     // 000000007988: 7E9C414E
	v_exp_f32_e32 v79, v79                                     // 00000000798C: 7E9E414F
	v_exp_f32_e32 v80, v80                                     // 000000007990: 7EA04150
	v_exp_f32_e32 v81, v81                                     // 000000007994: 7EA24151
	v_exp_f32_e32 v82, v82                                     // 000000007998: 7EA44152
	v_exp_f32_e32 v83, v83                                     // 00000000799C: 7EA64153
	v_exp_f32_e32 v84, v84                                     // 0000000079A0: 7EA84154
	v_exp_f32_e32 v85, v85                                     // 0000000079A4: 7EAA4155
	v_exp_f32_e32 v86, v86                                     // 0000000079A8: 7EAC4156
	v_exp_f32_e32 v87, v87                                     // 0000000079AC: 7EAE4157
	v_exp_f32_e32 v88, v88                                     // 0000000079B0: 7EB04158
	v_exp_f32_e32 v89, v89                                     // 0000000079B4: 7EB24159
	v_exp_f32_e32 v90, v90                                     // 0000000079B8: 7EB4415A
	v_exp_f32_e32 v91, v91                                     // 0000000079BC: 7EB6415B
	v_exp_f32_e32 v92, v92                                     // 0000000079C0: 7EB8415C
	v_exp_f32_e32 v93, v93                                     // 0000000079C4: 7EBA415D
	v_exp_f32_e32 v94, v94                                     // 0000000079C8: 7EBC415E
	v_exp_f32_e32 v95, v95                                     // 0000000079CC: 7EBE415F
	v_exp_f32_e32 v96, v96                                     // 0000000079D0: 7EC04160
	v_exp_f32_e32 v97, v97                                     // 0000000079D4: 7EC24161
	v_exp_f32_e32 v98, v98                                     // 0000000079D8: 7EC44162
	v_exp_f32_e32 v99, v99                                     // 0000000079DC: 7EC64163
	v_exp_f32_e32 v100, v100                                   // 0000000079E0: 7EC84164
	v_exp_f32_e32 v101, v101                                   // 0000000079E4: 7ECA4165
	v_exp_f32_e32 v102, v102                                   // 0000000079E8: 7ECC4166
	v_exp_f32_e32 v103, v103                                   // 0000000079EC: 7ECE4167
	v_exp_f32_e32 v104, v104                                   // 0000000079F0: 7ED04168
	v_exp_f32_e32 v105, v105                                   // 0000000079F4: 7ED24169
	v_exp_f32_e32 v106, v106                                   // 0000000079F8: 7ED4416A
	v_exp_f32_e32 v107, v107                                   // 0000000079FC: 7ED6416B
	v_exp_f32_e32 v108, v108                                   // 000000007A00: 7ED8416C
	v_exp_f32_e32 v109, v109                                   // 000000007A04: 7EDA416D
	v_exp_f32_e32 v110, v110                                   // 000000007A08: 7EDC416E
	v_exp_f32_e32 v111, v111                                   // 000000007A0C: 7EDE416F
	v_exp_f32_e32 v112, v112                                   // 000000007A10: 7EE04170
	v_exp_f32_e32 v113, v113                                   // 000000007A14: 7EE24171
	v_exp_f32_e32 v114, v114                                   // 000000007A18: 7EE44172
	v_exp_f32_e32 v115, v115                                   // 000000007A1C: 7EE64173
	v_exp_f32_e32 v116, v116                                   // 000000007A20: 7EE84174
	v_exp_f32_e32 v117, v117                                   // 000000007A24: 7EEA4175
	v_exp_f32_e32 v118, v118                                   // 000000007A28: 7EEC4176
	v_exp_f32_e32 v119, v119                                   // 000000007A2C: 7EEE4177
	v_exp_f32_e32 v120, v120                                   // 000000007A30: 7EF04178
	v_exp_f32_e32 v121, v121                                   // 000000007A34: 7EF24179
	v_exp_f32_e32 v122, v122                                   // 000000007A38: 7EF4417A
	v_exp_f32_e32 v123, v123                                   // 000000007A3C: 7EF6417B
	v_sub_f32_e32 v196, v200, v201                             // 000000007A40: 058993C8
	v_cmp_eq_u32_e64 s[64:65], v205, v200                      // 000000007A44: D0CA0040 000391CD
	s_nop 0                                                    // 000000007A4C: BF800000
	v_cndmask_b32_e64 v196, v196, 0, s[64:65]                  // 000000007A50: D10000C4 010101C4
	v_mov_b32_e32 v200, v201                                   // 000000007A58: 7F9003C9
	v_mul_f32_e32 v196, s54, v196                              // 000000007A5C: 0B898836
	v_exp_f32_e32 v196, v196                                   // 000000007A60: 7F8841C4
	s_nop 0                                                    // 000000007A64: BF800000
	v_mul_f32_e32 v198, v196, v198                             // 000000007A68: 0B8D8DC4
	v_add_f32_e32 v198, v60, v198                              // 000000007A6C: 038D8D3C
	v_add_f32_e32 v198, v61, v198                              // 000000007A70: 038D8D3D
	v_add_f32_e32 v198, v62, v198                              // 000000007A74: 038D8D3E
	v_add_f32_e32 v198, v63, v198                              // 000000007A78: 038D8D3F
	v_add_f32_e32 v198, v64, v198                              // 000000007A7C: 038D8D40
	v_add_f32_e32 v198, v65, v198                              // 000000007A80: 038D8D41
	v_add_f32_e32 v198, v66, v198                              // 000000007A84: 038D8D42
	v_add_f32_e32 v198, v67, v198                              // 000000007A88: 038D8D43
	v_add_f32_e32 v198, v68, v198                              // 000000007A8C: 038D8D44
	v_add_f32_e32 v198, v69, v198                              // 000000007A90: 038D8D45
	v_add_f32_e32 v198, v70, v198                              // 000000007A94: 038D8D46
	v_add_f32_e32 v198, v71, v198                              // 000000007A98: 038D8D47
	v_add_f32_e32 v198, v72, v198                              // 000000007A9C: 038D8D48
	v_add_f32_e32 v198, v73, v198                              // 000000007AA0: 038D8D49
	v_add_f32_e32 v198, v74, v198                              // 000000007AA4: 038D8D4A
	v_add_f32_e32 v198, v75, v198                              // 000000007AA8: 038D8D4B
	v_add_f32_e32 v198, v76, v198                              // 000000007AAC: 038D8D4C
	v_add_f32_e32 v198, v77, v198                              // 000000007AB0: 038D8D4D
	v_add_f32_e32 v198, v78, v198                              // 000000007AB4: 038D8D4E
	v_add_f32_e32 v198, v79, v198                              // 000000007AB8: 038D8D4F
	v_add_f32_e32 v198, v80, v198                              // 000000007ABC: 038D8D50
	v_add_f32_e32 v198, v81, v198                              // 000000007AC0: 038D8D51
	v_add_f32_e32 v198, v82, v198                              // 000000007AC4: 038D8D52
	v_add_f32_e32 v198, v83, v198                              // 000000007AC8: 038D8D53
	v_add_f32_e32 v198, v84, v198                              // 000000007ACC: 038D8D54
	v_add_f32_e32 v198, v85, v198                              // 000000007AD0: 038D8D55
	v_add_f32_e32 v198, v86, v198                              // 000000007AD4: 038D8D56
	v_add_f32_e32 v198, v87, v198                              // 000000007AD8: 038D8D57
	v_add_f32_e32 v198, v88, v198                              // 000000007ADC: 038D8D58
	v_add_f32_e32 v198, v89, v198                              // 000000007AE0: 038D8D59
	v_add_f32_e32 v198, v90, v198                              // 000000007AE4: 038D8D5A
	v_add_f32_e32 v198, v91, v198                              // 000000007AE8: 038D8D5B
	v_add_f32_e32 v198, v92, v198                              // 000000007AEC: 038D8D5C
	v_add_f32_e32 v198, v93, v198                              // 000000007AF0: 038D8D5D
	v_add_f32_e32 v198, v94, v198                              // 000000007AF4: 038D8D5E
	v_add_f32_e32 v198, v95, v198                              // 000000007AF8: 038D8D5F
	v_add_f32_e32 v198, v96, v198                              // 000000007AFC: 038D8D60
	v_add_f32_e32 v198, v97, v198                              // 000000007B00: 038D8D61
	v_add_f32_e32 v198, v98, v198                              // 000000007B04: 038D8D62
	v_add_f32_e32 v198, v99, v198                              // 000000007B08: 038D8D63
	v_add_f32_e32 v198, v100, v198                             // 000000007B0C: 038D8D64
	v_add_f32_e32 v198, v101, v198                             // 000000007B10: 038D8D65
	v_add_f32_e32 v198, v102, v198                             // 000000007B14: 038D8D66
	v_add_f32_e32 v198, v103, v198                             // 000000007B18: 038D8D67
	v_add_f32_e32 v198, v104, v198                             // 000000007B1C: 038D8D68
	v_add_f32_e32 v198, v105, v198                             // 000000007B20: 038D8D69
	v_add_f32_e32 v198, v106, v198                             // 000000007B24: 038D8D6A
	v_add_f32_e32 v198, v107, v198                             // 000000007B28: 038D8D6B
	v_add_f32_e32 v198, v108, v198                             // 000000007B2C: 038D8D6C
	v_add_f32_e32 v198, v109, v198                             // 000000007B30: 038D8D6D
	v_add_f32_e32 v198, v110, v198                             // 000000007B34: 038D8D6E
	v_add_f32_e32 v198, v111, v198                             // 000000007B38: 038D8D6F
	v_add_f32_e32 v198, v112, v198                             // 000000007B3C: 038D8D70
	v_add_f32_e32 v198, v113, v198                             // 000000007B40: 038D8D71
	v_add_f32_e32 v198, v114, v198                             // 000000007B44: 038D8D72
	v_add_f32_e32 v198, v115, v198                             // 000000007B48: 038D8D73
	v_add_f32_e32 v198, v116, v198                             // 000000007B4C: 038D8D74
	v_add_f32_e32 v198, v117, v198                             // 000000007B50: 038D8D75
	v_add_f32_e32 v198, v118, v198                             // 000000007B54: 038D8D76
	v_add_f32_e32 v198, v119, v198                             // 000000007B58: 038D8D77
	v_add_f32_e32 v198, v120, v198                             // 000000007B5C: 038D8D78
	v_add_f32_e32 v198, v121, v198                             // 000000007B60: 038D8D79
	v_add_f32_e32 v198, v122, v198                             // 000000007B64: 038D8D7A
	v_add_f32_e32 v198, v123, v198                             // 000000007B68: 038D8D7B
	v_mul_f32_e32 v124, v196, v124                             // 000000007B6C: 0AF8F9C4
	v_mul_f32_e32 v125, v196, v125                             // 000000007B70: 0AFAFBC4
	v_mul_f32_e32 v126, v196, v126                             // 000000007B74: 0AFCFDC4
	v_mul_f32_e32 v127, v196, v127                             // 000000007B78: 0AFEFFC4
	v_mul_f32_e32 v128, v196, v128                             // 000000007B7C: 0B0101C4
	v_mul_f32_e32 v129, v196, v129                             // 000000007B80: 0B0303C4
	v_mul_f32_e32 v130, v196, v130                             // 000000007B84: 0B0505C4
	v_mul_f32_e32 v131, v196, v131                             // 000000007B88: 0B0707C4
	v_mul_f32_e32 v132, v196, v132                             // 000000007B8C: 0B0909C4
	v_mul_f32_e32 v133, v196, v133                             // 000000007B90: 0B0B0BC4
	v_mul_f32_e32 v134, v196, v134                             // 000000007B94: 0B0D0DC4
	v_mul_f32_e32 v135, v196, v135                             // 000000007B98: 0B0F0FC4
	v_mul_f32_e32 v136, v196, v136                             // 000000007B9C: 0B1111C4
	v_mul_f32_e32 v137, v196, v137                             // 000000007BA0: 0B1313C4
	v_mul_f32_e32 v138, v196, v138                             // 000000007BA4: 0B1515C4
	v_mul_f32_e32 v139, v196, v139                             // 000000007BA8: 0B1717C4
	v_mul_f32_e32 v140, v196, v140                             // 000000007BAC: 0B1919C4
	v_mul_f32_e32 v141, v196, v141                             // 000000007BB0: 0B1B1BC4
	v_mul_f32_e32 v142, v196, v142                             // 000000007BB4: 0B1D1DC4
	v_mul_f32_e32 v143, v196, v143                             // 000000007BB8: 0B1F1FC4
	v_mul_f32_e32 v144, v196, v144                             // 000000007BBC: 0B2121C4
	v_mul_f32_e32 v145, v196, v145                             // 000000007BC0: 0B2323C4
	v_mul_f32_e32 v146, v196, v146                             // 000000007BC4: 0B2525C4
	v_mul_f32_e32 v147, v196, v147                             // 000000007BC8: 0B2727C4
	v_mul_f32_e32 v148, v196, v148                             // 000000007BCC: 0B2929C4
	s_waitcnt vmcnt(0)                                         // 000000007BD0: BF8C0F70
	s_barrier                                                  // 000000007BD4: BF8A0000
	v_mul_f32_e32 v149, v196, v149                             // 000000007BD8: 0B2B2BC4
	v_mul_f32_e32 v150, v196, v150                             // 000000007BDC: 0B2D2DC4
	v_mul_f32_e32 v151, v196, v151                             // 000000007BE0: 0B2F2FC4
	v_mul_f32_e32 v152, v196, v152                             // 000000007BE4: 0B3131C4
	v_mul_f32_e32 v153, v196, v153                             // 000000007BE8: 0B3333C4
	v_mul_f32_e32 v154, v196, v154                             // 000000007BEC: 0B3535C4
	v_mul_f32_e32 v155, v196, v155                             // 000000007BF0: 0B3737C4
	v_mul_f32_e32 v156, v196, v156                             // 000000007BF4: 0B3939C4
	v_mul_f32_e32 v157, v196, v157                             // 000000007BF8: 0B3B3BC4
	v_mul_f32_e32 v158, v196, v158                             // 000000007BFC: 0B3D3DC4
	v_mul_f32_e32 v159, v196, v159                             // 000000007C00: 0B3F3FC4
	v_mul_f32_e32 v160, v196, v160                             // 000000007C04: 0B4141C4
	v_mul_f32_e32 v161, v196, v161                             // 000000007C08: 0B4343C4
	v_mul_f32_e32 v162, v196, v162                             // 000000007C0C: 0B4545C4
	v_mul_f32_e32 v163, v196, v163                             // 000000007C10: 0B4747C4
	v_mul_f32_e32 v164, v196, v164                             // 000000007C14: 0B4949C4
	v_mul_f32_e32 v165, v196, v165                             // 000000007C18: 0B4B4BC4
	v_mul_f32_e32 v166, v196, v166                             // 000000007C1C: 0B4D4DC4
	v_mul_f32_e32 v167, v196, v167                             // 000000007C20: 0B4F4FC4
	v_mul_f32_e32 v168, v196, v168                             // 000000007C24: 0B5151C4
	v_mul_f32_e32 v169, v196, v169                             // 000000007C28: 0B5353C4
	v_mul_f32_e32 v170, v196, v170                             // 000000007C2C: 0B5555C4
	v_mul_f32_e32 v171, v196, v171                             // 000000007C30: 0B5757C4
	v_mul_f32_e32 v172, v196, v172                             // 000000007C34: 0B5959C4
	v_mul_f32_e32 v173, v196, v173                             // 000000007C38: 0B5B5BC4
	v_mul_f32_e32 v174, v196, v174                             // 000000007C3C: 0B5D5DC4
	v_mul_f32_e32 v175, v196, v175                             // 000000007C40: 0B5F5FC4
	v_mul_f32_e32 v176, v196, v176                             // 000000007C44: 0B6161C4
	v_mul_f32_e32 v177, v196, v177                             // 000000007C48: 0B6363C4
	v_mul_f32_e32 v178, v196, v178                             // 000000007C4C: 0B6565C4
	v_mul_f32_e32 v179, v196, v179                             // 000000007C50: 0B6767C4
	v_mul_f32_e32 v180, v196, v180                             // 000000007C54: 0B6969C4
	v_mul_f32_e32 v181, v196, v181                             // 000000007C58: 0B6B6BC4
	v_mul_f32_e32 v182, v196, v182                             // 000000007C5C: 0B6D6DC4
	v_mul_f32_e32 v183, v196, v183                             // 000000007C60: 0B6F6FC4
	v_mul_f32_e32 v184, v196, v184                             // 000000007C64: 0B7171C4
	v_mul_f32_e32 v185, v196, v185                             // 000000007C68: 0B7373C4
	v_mul_f32_e32 v186, v196, v186                             // 000000007C6C: 0B7575C4
	v_mul_f32_e32 v187, v196, v187                             // 000000007C70: 0B7777C4
	s_barrier                                                  // 000000007C74: BF8A0000
	v_cvt_pk_fp8_f32 v60, v60, v61                             // 000000007C78: D2A2003C 00027B3C
	v_cvt_pk_fp8_f32 v60, v62, v63 op_sel:[0,0,1]              // 000000007C80: D2A2403C 00027F3E
	v_cvt_pk_fp8_f32 v61, v64, v65                             // 000000007C88: D2A2003D 00028340
	v_cvt_pk_fp8_f32 v61, v66, v67 op_sel:[0,0,1]              // 000000007C90: D2A2403D 00028742
	v_cvt_pk_fp8_f32 v62, v68, v69                             // 000000007C98: D2A2003E 00028B44
	v_cvt_pk_fp8_f32 v62, v70, v71 op_sel:[0,0,1]              // 000000007CA0: D2A2403E 00028F46
	v_cvt_pk_fp8_f32 v63, v72, v73                             // 000000007CA8: D2A2003F 00029348
	v_cvt_pk_fp8_f32 v63, v74, v75 op_sel:[0,0,1]              // 000000007CB0: D2A2403F 0002974A
	v_cvt_pk_fp8_f32 v64, v76, v77                             // 000000007CB8: D2A20040 00029B4C
	v_cvt_pk_fp8_f32 v64, v78, v79 op_sel:[0,0,1]              // 000000007CC0: D2A24040 00029F4E
	v_cvt_pk_fp8_f32 v65, v80, v81                             // 000000007CC8: D2A20041 0002A350
	v_cvt_pk_fp8_f32 v65, v82, v83 op_sel:[0,0,1]              // 000000007CD0: D2A24041 0002A752
	v_cvt_pk_fp8_f32 v66, v84, v85                             // 000000007CD8: D2A20042 0002AB54
	v_cvt_pk_fp8_f32 v66, v86, v87 op_sel:[0,0,1]              // 000000007CE0: D2A24042 0002AF56
	v_cvt_pk_fp8_f32 v67, v88, v89                             // 000000007CE8: D2A20043 0002B358
	v_cvt_pk_fp8_f32 v67, v90, v91 op_sel:[0,0,1]              // 000000007CF0: D2A24043 0002B75A
	v_cvt_pk_fp8_f32 v68, v92, v93                             // 000000007CF8: D2A20044 0002BB5C
	v_cvt_pk_fp8_f32 v68, v94, v95 op_sel:[0,0,1]              // 000000007D00: D2A24044 0002BF5E
	v_cvt_pk_fp8_f32 v69, v96, v97                             // 000000007D08: D2A20045 0002C360
	v_cvt_pk_fp8_f32 v69, v98, v99 op_sel:[0,0,1]              // 000000007D10: D2A24045 0002C762
	v_cvt_pk_fp8_f32 v70, v100, v101                           // 000000007D18: D2A20046 0002CB64
	v_cvt_pk_fp8_f32 v70, v102, v103 op_sel:[0,0,1]            // 000000007D20: D2A24046 0002CF66
	v_cvt_pk_fp8_f32 v71, v104, v105                           // 000000007D28: D2A20047 0002D368
	v_cvt_pk_fp8_f32 v71, v106, v107 op_sel:[0,0,1]            // 000000007D30: D2A24047 0002D76A
	v_cvt_pk_fp8_f32 v72, v108, v109                           // 000000007D38: D2A20048 0002DB6C
	v_cvt_pk_fp8_f32 v72, v110, v111 op_sel:[0,0,1]            // 000000007D40: D2A24048 0002DF6E
	v_cvt_pk_fp8_f32 v73, v112, v113                           // 000000007D48: D2A20049 0002E370
	v_cvt_pk_fp8_f32 v73, v114, v115 op_sel:[0,0,1]            // 000000007D50: D2A24049 0002E772
	v_cvt_pk_fp8_f32 v74, v116, v117                           // 000000007D58: D2A2004A 0002EB74
	v_cvt_pk_fp8_f32 v74, v118, v119 op_sel:[0,0,1]            // 000000007D60: D2A2404A 0002EF76
	v_cvt_pk_fp8_f32 v75, v120, v121                           // 000000007D68: D2A2004B 0002F378
	v_cvt_pk_fp8_f32 v75, v122, v123 op_sel:[0,0,1]            // 000000007D70: D2A2404B 0002F77A
	s_barrier                                                  // 000000007D78: BF8A0000
	s_waitcnt lgkmcnt(8)                                       // 000000007D7C: BF8CC87F
	s_setprio 1                                                // 000000007D80: BF8F0001
	s_barrier                                                  // 000000007D84: BF8A0000
	v_mfma_f32_32x32x64_f8f6f4 v[124:139], v[28:35], v[60:67], v[124:139]// 000000007D88: D3AE007C 05F2791C
	ds_read_b64_tr_b8 v[52:53], v227 offset:8352               // 000000007D90: D9C420A0 340000E3
	ds_read_b64_tr_b8 v[54:55], v227 offset:8608               // 000000007D98: D9C421A0 360000E3
	ds_read_b64_tr_b8 v[56:57], v227 offset:8864               // 000000007DA0: D9C422A0 380000E3
	ds_read_b64_tr_b8 v[58:59], v227 offset:9120               // 000000007DA8: D9C423A0 3A0000E3
	s_waitcnt lgkmcnt(8)                                       // 000000007DB0: BF8CC87F
	v_mfma_f32_32x32x64_f8f6f4 v[124:139], v[36:43], v[68:75], v[124:139]// 000000007DB4: D3AE007C 05F28924
	ds_read_b64_tr_b8 v[28:29], v227 offset:64                 // 000000007DBC: D9C40040 1C0000E3
	ds_read_b64_tr_b8 v[30:31], v227 offset:320                // 000000007DC4: D9C40140 1E0000E3
	ds_read_b64_tr_b8 v[32:33], v227 offset:576                // 000000007DCC: D9C40240 200000E3
	ds_read_b64_tr_b8 v[34:35], v227 offset:832                // 000000007DD4: D9C40340 220000E3
	s_waitcnt lgkmcnt(8)                                       // 000000007DDC: BF8CC87F
	v_mfma_f32_32x32x64_f8f6f4 v[140:155], v[44:51], v[60:67], v[140:155]// 000000007DE0: D3AE008C 0632792C
	ds_read_b64_tr_b8 v[36:37], v227 offset:8384               // 000000007DE8: D9C420C0 240000E3
	ds_read_b64_tr_b8 v[38:39], v227 offset:8640               // 000000007DF0: D9C421C0 260000E3
	ds_read_b64_tr_b8 v[40:41], v227 offset:8896               // 000000007DF8: D9C422C0 280000E3
	ds_read_b64_tr_b8 v[42:43], v227 offset:9152               // 000000007E00: D9C423C0 2A0000E3
	s_waitcnt lgkmcnt(8)                                       // 000000007E08: BF8CC87F
	v_mfma_f32_32x32x64_f8f6f4 v[140:155], v[52:59], v[68:75], v[140:155]// 000000007E0C: D3AE008C 06328934
	ds_read_b64_tr_b8 v[44:45], v227 offset:96                 // 000000007E14: D9C40060 2C0000E3
	ds_read_b64_tr_b8 v[46:47], v227 offset:352                // 000000007E1C: D9C40160 2E0000E3
	ds_read_b64_tr_b8 v[48:49], v227 offset:608                // 000000007E24: D9C40260 300000E3
	ds_read_b64_tr_b8 v[50:51], v227 offset:864                // 000000007E2C: D9C40360 320000E3
	s_waitcnt lgkmcnt(8)                                       // 000000007E34: BF8CC87F
	v_mfma_f32_32x32x64_f8f6f4 v[156:171], v[28:35], v[60:67], v[156:171]// 000000007E38: D3AE009C 0672791C
	ds_read_b64_tr_b8 v[52:53], v227 offset:8416               // 000000007E40: D9C420E0 340000E3
	ds_read_b64_tr_b8 v[54:55], v227 offset:8672               // 000000007E48: D9C421E0 360000E3
	ds_read_b64_tr_b8 v[56:57], v227 offset:8928               // 000000007E50: D9C422E0 380000E3
	ds_read_b64_tr_b8 v[58:59], v227 offset:9184               // 000000007E58: D9C423E0 3A0000E3
	s_waitcnt lgkmcnt(8)                                       // 000000007E60: BF8CC87F
	v_mfma_f32_32x32x64_f8f6f4 v[156:171], v[36:43], v[68:75], v[156:171]// 000000007E64: D3AE009C 06728924
	ds_read_b128 v[28:31], v226 offset:24960                   // 000000007E6C: D9FE6180 1C0000E2
	ds_read_b128 v[32:35], v226 offset:24992                   // 000000007E74: D9FE61A0 200000E2
	s_waitcnt lgkmcnt(6)                                       // 000000007E7C: BF8CC67F
	v_mfma_f32_32x32x64_f8f6f4 v[172:187], v[44:51], v[60:67], v[172:187]// 000000007E80: D3AE00AC 06B2792C
	ds_read_b128 v[36:39], v226 offset:29120                   // 000000007E88: D9FE71C0 240000E2
	ds_read_b128 v[40:43], v226 offset:29152                   // 000000007E90: D9FE71E0 280000E2
	s_waitcnt lgkmcnt(4)                                       // 000000007E98: BF8CC47F
	v_mfma_f32_32x32x64_f8f6f4 v[172:187], v[52:59], v[68:75], v[172:187]// 000000007E9C: D3AE00AC 06B28934
	ds_read_b128 v[44:47], v226 offset:33280                   // 000000007EA4: D9FE8200 2C0000E2
	ds_read_b128 v[48:51], v226 offset:33312                   // 000000007EAC: D9FE8220 300000E2
	s_addk_i32 s72, 0x80                                       // 000000007EB4: B7480080

0000000000007eb8 <label_16AE>:
	s_cmp_lt_i32 s72, s89                                      // 000000007EB8: BF045948
	s_cbranch_scc0 label_1A3D                                  // 000000007EBC: BF84038D
	s_waitcnt lgkmcnt(4)                                       // 000000007EC0: BF8CC47F
	v_mfma_f32_32x32x64_f8f6f4 v[60:75], v[28:35], v[4:11], 0  // 000000007EC4: D3AE003C 0202091C
	v_mul_i32_i24_dpp v192, v189, v235 quad_perm:[0,0,0,0] row_mask:0xf bank_mask:0xf// 000000007ECC: 0D81D6FA FF0000BD
	v_mul_i32_i24_dpp v193, v189, v235 quad_perm:[1,1,1,1] row_mask:0xf bank_mask:0xf// 000000007ED4: 0D83D6FA FF0055BD
	v_mul_i32_i24_dpp v194, v189, v235 quad_perm:[2,2,2,2] row_mask:0xf bank_mask:0xf// 000000007EDC: 0D85D6FA FF00AABD
	v_mul_i32_i24_dpp v195, v189, v235 quad_perm:[3,3,3,3] row_mask:0xf bank_mask:0xf// 000000007EE4: 0D87D6FA FF00FFBD
	v_add_u32_e32 v222, v221, v192                             // 000000007EEC: 69BD81DD
	v_add_u32_e32 v223, v221, v193                             // 000000007EF0: 69BF83DD
	v_add_u32_e32 v224, v221, v194                             // 000000007EF4: 69C185DD
	v_add_u32_e32 v225, v221, v195                             // 000000007EF8: 69C387DD
	ds_read_b128 v[52:55], v226 offset:25472                   // 000000007EFC: D9FE6380 340000E2
	ds_read_b128 v[56:59], v226 offset:25504                   // 000000007F04: D9FE63A0 380000E2
	s_waitcnt lgkmcnt(4)                                       // 000000007F0C: BF8CC47F
	v_mfma_f32_32x32x64_f8f6f4 v[60:75], v[36:43], v[12:19], v[60:75]// 000000007F10: D3AE003C 04F21924
	s_add_u32 m0, s94, 0                                       // 000000007F18: 807C805E
	buffer_load_dwordx4 v222, s[12:15], 0 offen lds            // 000000007F1C: E05D1000 800300DE
	ds_read_b128 v[28:31], v226 offset:29632                   // 000000007F24: D9FE73C0 1C0000E2
	ds_read_b128 v[32:35], v226 offset:29664                   // 000000007F2C: D9FE73E0 200000E2
	s_waitcnt lgkmcnt(4)                                       // 000000007F34: BF8CC47F
	v_mfma_f32_32x32x64_f8f6f4 v[60:75], v[44:51], v[20:27], v[60:75]// 000000007F38: D3AE003C 04F2292C
	s_add_u32 m0, s94, 0x410                                   // 000000007F40: 807CFF5E 00000410
	buffer_load_dwordx4 v223, s[12:15], 0 offen lds            // 000000007F48: E05D1000 800300DF
	ds_read_b128 v[36:39], v226 offset:33792                   // 000000007F50: D9FE8400 240000E2
	ds_read_b128 v[40:43], v226 offset:33824                   // 000000007F58: D9FE8420 280000E2
	s_waitcnt lgkmcnt(4)                                       // 000000007F60: BF8CC47F
	v_mfma_f32_32x32x64_f8f6f4 v[76:91], v[52:59], v[4:11], 0  // 000000007F64: D3AE004C 02020934
	s_add_u32 m0, s94, 0x820                                   // 000000007F6C: 807CFF5E 00000820
	buffer_load_dwordx4 v224, s[12:15], 0 offen lds            // 000000007F74: E05D1000 800300E0
	ds_read_b128 v[44:47], v226 offset:37440                   // 000000007F7C: D9FE9240 2C0000E2
	ds_read_b128 v[48:51], v226 offset:37472                   // 000000007F84: D9FE9260 300000E2
	s_waitcnt lgkmcnt(4)                                       // 000000007F8C: BF8CC47F
	v_mfma_f32_32x32x64_f8f6f4 v[76:91], v[28:35], v[12:19], v[76:91]// 000000007F90: D3AE004C 0532191C
	s_add_u32 m0, s94, 0xc30                                   // 000000007F98: 807CFF5E 00000C30
	buffer_load_dwordx4 v225, s[12:15], 0 offen lds            // 000000007FA0: E05D1000 800300E1
	ds_read_b128 v[52:55], v226 offset:41600                   // 000000007FA8: D9FEA280 340000E2
	ds_read_b128 v[56:59], v226 offset:41632                   // 000000007FB0: D9FEA2A0 380000E2
	s_waitcnt lgkmcnt(4)                                       // 000000007FB8: BF8CC47F
	v_mfma_f32_32x32x64_f8f6f4 v[76:91], v[36:43], v[20:27], v[76:91]// 000000007FBC: D3AE004C 05322924
	ds_read_b128 v[28:31], v226 offset:45760                   // 000000007FC4: D9FEB2C0 1C0000E2
	ds_read_b128 v[32:35], v226 offset:45792                   // 000000007FCC: D9FEB2E0 200000E2
	s_waitcnt lgkmcnt(4)                                       // 000000007FD4: BF8CC47F
	v_mfma_f32_32x32x64_f8f6f4 v[92:107], v[44:51], v[4:11], 0 // 000000007FD8: D3AE005C 0202092C
	ds_read_b128 v[36:39], v226 offset:37952                   // 000000007FE0: D9FE9440 240000E2
	ds_read_b128 v[40:43], v226 offset:37984                   // 000000007FE8: D9FE9460 280000E2
	s_waitcnt lgkmcnt(4)                                       // 000000007FF0: BF8CC47F
	v_mfma_f32_32x32x64_f8f6f4 v[92:107], v[52:59], v[12:19], v[92:107]// 000000007FF4: D3AE005C 05721934
	ds_read_b128 v[44:47], v226 offset:42112                   // 000000007FFC: D9FEA480 2C0000E2
	ds_read_b128 v[48:51], v226 offset:42144                   // 000000008004: D9FEA4A0 300000E2
	s_waitcnt lgkmcnt(4)                                       // 00000000800C: BF8CC47F
	v_mfma_f32_32x32x64_f8f6f4 v[92:107], v[28:35], v[20:27], v[92:107]// 000000008010: D3AE005C 0572291C
	ds_read_b128 v[52:55], v226 offset:46272                   // 000000008018: D9FEB4C0 340000E2
	ds_read_b128 v[56:59], v226 offset:46304                   // 000000008020: D9FEB4E0 380000E2
	s_waitcnt lgkmcnt(4)                                       // 000000008028: BF8CC47F
	v_mfma_f32_32x32x64_f8f6f4 v[108:123], v[36:43], v[4:11], 0// 00000000802C: D3AE006C 02020924
	ds_read_b64_tr_b8 v[28:29], v227 offset:16640              // 000000008034: D9C44100 1C0000E3
	ds_read_b64_tr_b8 v[30:31], v227 offset:16896              // 00000000803C: D9C44200 1E0000E3
	ds_read_b64_tr_b8 v[32:33], v227 offset:17152              // 000000008044: D9C44300 200000E3
	ds_read_b64_tr_b8 v[34:35], v227 offset:17408              // 00000000804C: D9C44400 220000E3
	s_waitcnt lgkmcnt(6)                                       // 000000008054: BF8CC67F
	v_mfma_f32_32x32x64_f8f6f4 v[108:123], v[44:51], v[12:19], v[108:123]// 000000008058: D3AE006C 05B2192C
	ds_read_b64_tr_b8 v[36:37], v227 offset:24960              // 000000008060: D9C46180 240000E3
	ds_read_b64_tr_b8 v[38:39], v227 offset:25216              // 000000008068: D9C46280 260000E3
	ds_read_b64_tr_b8 v[40:41], v227 offset:25472              // 000000008070: D9C46380 280000E3
	ds_read_b64_tr_b8 v[42:43], v227 offset:25728              // 000000008078: D9C46480 2A0000E3
	s_waitcnt lgkmcnt(8)                                       // 000000008080: BF8CC87F
	v_mfma_f32_32x32x64_f8f6f4 v[108:123], v[52:59], v[20:27], v[108:123]// 000000008084: D3AE006C 05B22934
	ds_read_b64_tr_b8 v[44:45], v227 offset:16672              // 00000000808C: D9C44120 2C0000E3
	ds_read_b64_tr_b8 v[46:47], v227 offset:16928              // 000000008094: D9C44220 2E0000E3
	ds_read_b64_tr_b8 v[48:49], v227 offset:17184              // 00000000809C: D9C44320 300000E3
	ds_read_b64_tr_b8 v[50:51], v227 offset:17440              // 0000000080A4: D9C44420 320000E3
	s_nop 0                                                    // 0000000080AC: BF800000
	s_nop 4                                                    // 0000000080B0: BF800004
	s_barrier                                                  // 0000000080B4: BF8A0000
	s_setprio 0                                                // 0000000080B8: BF8F0000
	s_barrier                                                  // 0000000080BC: BF8A0000
	v_add_u32_e32 v192, s72, v203                              // 0000000080C0: 69819648
	v_add_u32_e32 v193, 0, v192                                // 0000000080C4: 69838080
	v_cmp_lt_i32_e32 vcc, v193, v202                           // 0000000080C8: 7D8395C1
	s_nop 0                                                    // 0000000080CC: BF800000
	v_cndmask_b32_e32 v60, v205, v60, vcc                      // 0000000080D0: 007879CD
	v_add_u32_e32 v193, 1, v192                                // 0000000080D4: 69838081
	v_cmp_lt_i32_e32 vcc, v193, v202                           // 0000000080D8: 7D8395C1
	s_nop 0                                                    // 0000000080DC: BF800000
	v_cndmask_b32_e32 v61, v205, v61, vcc                      // 0000000080E0: 007A7BCD
	v_add_u32_e32 v193, 2, v192                                // 0000000080E4: 69838082
	v_cmp_lt_i32_e32 vcc, v193, v202                           // 0000000080E8: 7D8395C1
	s_nop 0                                                    // 0000000080EC: BF800000
	v_cndmask_b32_e32 v62, v205, v62, vcc                      // 0000000080F0: 007C7DCD
	v_add_u32_e32 v193, 3, v192                                // 0000000080F4: 69838083
	v_cmp_lt_i32_e32 vcc, v193, v202                           // 0000000080F8: 7D8395C1
	s_nop 0                                                    // 0000000080FC: BF800000
	v_cndmask_b32_e32 v63, v205, v63, vcc                      // 000000008100: 007E7FCD
	v_add_u32_e32 v193, 8, v192                                // 000000008104: 69838088
	v_cmp_lt_i32_e32 vcc, v193, v202                           // 000000008108: 7D8395C1
	s_nop 0                                                    // 00000000810C: BF800000
	v_cndmask_b32_e32 v64, v205, v64, vcc                      // 000000008110: 008081CD
	v_add_u32_e32 v193, 9, v192                                // 000000008114: 69838089
	v_cmp_lt_i32_e32 vcc, v193, v202                           // 000000008118: 7D8395C1
	s_nop 0                                                    // 00000000811C: BF800000
	v_cndmask_b32_e32 v65, v205, v65, vcc                      // 000000008120: 008283CD
	v_add_u32_e32 v193, 10, v192                               // 000000008124: 6983808A
	v_cmp_lt_i32_e32 vcc, v193, v202                           // 000000008128: 7D8395C1
	s_nop 0                                                    // 00000000812C: BF800000
	v_cndmask_b32_e32 v66, v205, v66, vcc                      // 000000008130: 008485CD
	v_add_u32_e32 v193, 11, v192                               // 000000008134: 6983808B
	v_cmp_lt_i32_e32 vcc, v193, v202                           // 000000008138: 7D8395C1
	s_nop 0                                                    // 00000000813C: BF800000
	v_cndmask_b32_e32 v67, v205, v67, vcc                      // 000000008140: 008687CD
	v_add_u32_e32 v193, 16, v192                               // 000000008144: 69838090
	v_cmp_lt_i32_e32 vcc, v193, v202                           // 000000008148: 7D8395C1
	s_nop 0                                                    // 00000000814C: BF800000
	v_cndmask_b32_e32 v68, v205, v68, vcc                      // 000000008150: 008889CD
	v_add_u32_e32 v193, 17, v192                               // 000000008154: 69838091
	v_cmp_lt_i32_e32 vcc, v193, v202                           // 000000008158: 7D8395C1
	s_nop 0                                                    // 00000000815C: BF800000
	v_cndmask_b32_e32 v69, v205, v69, vcc                      // 000000008160: 008A8BCD
	v_add_u32_e32 v193, 18, v192                               // 000000008164: 69838092
	v_cmp_lt_i32_e32 vcc, v193, v202                           // 000000008168: 7D8395C1
	s_nop 0                                                    // 00000000816C: BF800000
	v_cndmask_b32_e32 v70, v205, v70, vcc                      // 000000008170: 008C8DCD
	v_add_u32_e32 v193, 19, v192                               // 000000008174: 69838093
	v_cmp_lt_i32_e32 vcc, v193, v202                           // 000000008178: 7D8395C1
	s_nop 0                                                    // 00000000817C: BF800000
	v_cndmask_b32_e32 v71, v205, v71, vcc                      // 000000008180: 008E8FCD
	v_add_u32_e32 v193, 24, v192                               // 000000008184: 69838098
	v_cmp_lt_i32_e32 vcc, v193, v202                           // 000000008188: 7D8395C1
	s_nop 0                                                    // 00000000818C: BF800000
	v_cndmask_b32_e32 v72, v205, v72, vcc                      // 000000008190: 009091CD
	v_add_u32_e32 v193, 25, v192                               // 000000008194: 69838099
	v_cmp_lt_i32_e32 vcc, v193, v202                           // 000000008198: 7D8395C1
	s_nop 0                                                    // 00000000819C: BF800000
	v_cndmask_b32_e32 v73, v205, v73, vcc                      // 0000000081A0: 009293CD
	v_add_u32_e32 v193, 26, v192                               // 0000000081A4: 6983809A
	v_cmp_lt_i32_e32 vcc, v193, v202                           // 0000000081A8: 7D8395C1
	s_nop 0                                                    // 0000000081AC: BF800000
	v_cndmask_b32_e32 v74, v205, v74, vcc                      // 0000000081B0: 009495CD
	v_add_u32_e32 v193, 27, v192                               // 0000000081B4: 6983809B
	v_cmp_lt_i32_e32 vcc, v193, v202                           // 0000000081B8: 7D8395C1
	s_nop 0                                                    // 0000000081BC: BF800000
	v_cndmask_b32_e32 v75, v205, v75, vcc                      // 0000000081C0: 009697CD
	v_add_u32_e32 v193, 32, v192                               // 0000000081C4: 698380A0
	v_cmp_lt_i32_e32 vcc, v193, v202                           // 0000000081C8: 7D8395C1
	s_nop 0                                                    // 0000000081CC: BF800000
	v_cndmask_b32_e32 v76, v205, v76, vcc                      // 0000000081D0: 009899CD
	v_add_u32_e32 v193, 33, v192                               // 0000000081D4: 698380A1
	v_cmp_lt_i32_e32 vcc, v193, v202                           // 0000000081D8: 7D8395C1
	s_nop 0                                                    // 0000000081DC: BF800000
	v_cndmask_b32_e32 v77, v205, v77, vcc                      // 0000000081E0: 009A9BCD
	v_add_u32_e32 v193, 34, v192                               // 0000000081E4: 698380A2
	v_cmp_lt_i32_e32 vcc, v193, v202                           // 0000000081E8: 7D8395C1
	s_nop 0                                                    // 0000000081EC: BF800000
	v_cndmask_b32_e32 v78, v205, v78, vcc                      // 0000000081F0: 009C9DCD
	v_add_u32_e32 v193, 35, v192                               // 0000000081F4: 698380A3
	v_cmp_lt_i32_e32 vcc, v193, v202                           // 0000000081F8: 7D8395C1
	s_nop 0                                                    // 0000000081FC: BF800000
	v_cndmask_b32_e32 v79, v205, v79, vcc                      // 000000008200: 009E9FCD
	v_add_u32_e32 v193, 40, v192                               // 000000008204: 698380A8
	v_cmp_lt_i32_e32 vcc, v193, v202                           // 000000008208: 7D8395C1
	s_nop 0                                                    // 00000000820C: BF800000
	v_cndmask_b32_e32 v80, v205, v80, vcc                      // 000000008210: 00A0A1CD
	v_add_u32_e32 v193, 41, v192                               // 000000008214: 698380A9
	v_cmp_lt_i32_e32 vcc, v193, v202                           // 000000008218: 7D8395C1
	s_nop 0                                                    // 00000000821C: BF800000
	v_cndmask_b32_e32 v81, v205, v81, vcc                      // 000000008220: 00A2A3CD
	v_add_u32_e32 v193, 42, v192                               // 000000008224: 698380AA
	v_cmp_lt_i32_e32 vcc, v193, v202                           // 000000008228: 7D8395C1
	s_nop 0                                                    // 00000000822C: BF800000
	v_cndmask_b32_e32 v82, v205, v82, vcc                      // 000000008230: 00A4A5CD
	v_add_u32_e32 v193, 43, v192                               // 000000008234: 698380AB
	v_cmp_lt_i32_e32 vcc, v193, v202                           // 000000008238: 7D8395C1
	s_nop 0                                                    // 00000000823C: BF800000
	v_cndmask_b32_e32 v83, v205, v83, vcc                      // 000000008240: 00A6A7CD
	v_add_u32_e32 v193, 48, v192                               // 000000008244: 698380B0
	v_cmp_lt_i32_e32 vcc, v193, v202                           // 000000008248: 7D8395C1
	s_nop 0                                                    // 00000000824C: BF800000
	v_cndmask_b32_e32 v84, v205, v84, vcc                      // 000000008250: 00A8A9CD
	v_add_u32_e32 v193, 49, v192                               // 000000008254: 698380B1
	v_cmp_lt_i32_e32 vcc, v193, v202                           // 000000008258: 7D8395C1
	s_nop 0                                                    // 00000000825C: BF800000
	v_cndmask_b32_e32 v85, v205, v85, vcc                      // 000000008260: 00AAABCD
	v_add_u32_e32 v193, 50, v192                               // 000000008264: 698380B2
	v_cmp_lt_i32_e32 vcc, v193, v202                           // 000000008268: 7D8395C1
	s_nop 0                                                    // 00000000826C: BF800000
	v_cndmask_b32_e32 v86, v205, v86, vcc                      // 000000008270: 00ACADCD
	v_add_u32_e32 v193, 51, v192                               // 000000008274: 698380B3
	v_cmp_lt_i32_e32 vcc, v193, v202                           // 000000008278: 7D8395C1
	s_nop 0                                                    // 00000000827C: BF800000
	v_cndmask_b32_e32 v87, v205, v87, vcc                      // 000000008280: 00AEAFCD
	v_add_u32_e32 v193, 56, v192                               // 000000008284: 698380B8
	v_cmp_lt_i32_e32 vcc, v193, v202                           // 000000008288: 7D8395C1
	s_nop 0                                                    // 00000000828C: BF800000
	v_cndmask_b32_e32 v88, v205, v88, vcc                      // 000000008290: 00B0B1CD
	v_add_u32_e32 v193, 57, v192                               // 000000008294: 698380B9
	v_cmp_lt_i32_e32 vcc, v193, v202                           // 000000008298: 7D8395C1
	s_nop 0                                                    // 00000000829C: BF800000
	v_cndmask_b32_e32 v89, v205, v89, vcc                      // 0000000082A0: 00B2B3CD
	v_add_u32_e32 v193, 58, v192                               // 0000000082A4: 698380BA
	v_cmp_lt_i32_e32 vcc, v193, v202                           // 0000000082A8: 7D8395C1
	s_nop 0                                                    // 0000000082AC: BF800000
	v_cndmask_b32_e32 v90, v205, v90, vcc                      // 0000000082B0: 00B4B5CD
	v_add_u32_e32 v193, 59, v192                               // 0000000082B4: 698380BB
	v_cmp_lt_i32_e32 vcc, v193, v202                           // 0000000082B8: 7D8395C1
	s_nop 0                                                    // 0000000082BC: BF800000
	v_cndmask_b32_e32 v91, v205, v91, vcc                      // 0000000082C0: 00B6B7CD
	v_add_u32_e32 v193, 64, v192                               // 0000000082C4: 698380C0
	v_cmp_lt_i32_e32 vcc, v193, v202                           // 0000000082C8: 7D8395C1
	s_nop 0                                                    // 0000000082CC: BF800000
	v_cndmask_b32_e32 v92, v205, v92, vcc                      // 0000000082D0: 00B8B9CD
	v_add_u32_e32 v193, 0x41, v192                             // 0000000082D4: 698380FF 00000041
	v_cmp_lt_i32_e32 vcc, v193, v202                           // 0000000082DC: 7D8395C1
	s_nop 0                                                    // 0000000082E0: BF800000
	v_cndmask_b32_e32 v93, v205, v93, vcc                      // 0000000082E4: 00BABBCD
	v_add_u32_e32 v193, 0x42, v192                             // 0000000082E8: 698380FF 00000042
	v_cmp_lt_i32_e32 vcc, v193, v202                           // 0000000082F0: 7D8395C1
	s_nop 0                                                    // 0000000082F4: BF800000
	v_cndmask_b32_e32 v94, v205, v94, vcc                      // 0000000082F8: 00BCBDCD
	v_add_u32_e32 v193, 0x43, v192                             // 0000000082FC: 698380FF 00000043
	v_cmp_lt_i32_e32 vcc, v193, v202                           // 000000008304: 7D8395C1
	s_nop 0                                                    // 000000008308: BF800000
	v_cndmask_b32_e32 v95, v205, v95, vcc                      // 00000000830C: 00BEBFCD
	v_add_u32_e32 v193, 0x48, v192                             // 000000008310: 698380FF 00000048
	v_cmp_lt_i32_e32 vcc, v193, v202                           // 000000008318: 7D8395C1
	s_nop 0                                                    // 00000000831C: BF800000
	v_cndmask_b32_e32 v96, v205, v96, vcc                      // 000000008320: 00C0C1CD
	v_add_u32_e32 v193, 0x49, v192                             // 000000008324: 698380FF 00000049
	v_cmp_lt_i32_e32 vcc, v193, v202                           // 00000000832C: 7D8395C1
	s_nop 0                                                    // 000000008330: BF800000
	v_cndmask_b32_e32 v97, v205, v97, vcc                      // 000000008334: 00C2C3CD
	v_add_u32_e32 v193, 0x4a, v192                             // 000000008338: 698380FF 0000004A
	v_cmp_lt_i32_e32 vcc, v193, v202                           // 000000008340: 7D8395C1
	s_nop 0                                                    // 000000008344: BF800000
	v_cndmask_b32_e32 v98, v205, v98, vcc                      // 000000008348: 00C4C5CD
	v_add_u32_e32 v193, 0x4b, v192                             // 00000000834C: 698380FF 0000004B
	v_cmp_lt_i32_e32 vcc, v193, v202                           // 000000008354: 7D8395C1
	s_nop 0                                                    // 000000008358: BF800000
	v_cndmask_b32_e32 v99, v205, v99, vcc                      // 00000000835C: 00C6C7CD
	v_add_u32_e32 v193, 0x50, v192                             // 000000008360: 698380FF 00000050
	v_cmp_lt_i32_e32 vcc, v193, v202                           // 000000008368: 7D8395C1
	s_nop 0                                                    // 00000000836C: BF800000
	v_cndmask_b32_e32 v100, v205, v100, vcc                    // 000000008370: 00C8C9CD
	v_add_u32_e32 v193, 0x51, v192                             // 000000008374: 698380FF 00000051
	v_cmp_lt_i32_e32 vcc, v193, v202                           // 00000000837C: 7D8395C1
	s_nop 0                                                    // 000000008380: BF800000
	v_cndmask_b32_e32 v101, v205, v101, vcc                    // 000000008384: 00CACBCD
	v_add_u32_e32 v193, 0x52, v192                             // 000000008388: 698380FF 00000052
	v_cmp_lt_i32_e32 vcc, v193, v202                           // 000000008390: 7D8395C1
	s_nop 0                                                    // 000000008394: BF800000
	v_cndmask_b32_e32 v102, v205, v102, vcc                    // 000000008398: 00CCCDCD
	v_add_u32_e32 v193, 0x53, v192                             // 00000000839C: 698380FF 00000053
	v_cmp_lt_i32_e32 vcc, v193, v202                           // 0000000083A4: 7D8395C1
	s_nop 0                                                    // 0000000083A8: BF800000
	v_cndmask_b32_e32 v103, v205, v103, vcc                    // 0000000083AC: 00CECFCD
	v_add_u32_e32 v193, 0x58, v192                             // 0000000083B0: 698380FF 00000058
	v_cmp_lt_i32_e32 vcc, v193, v202                           // 0000000083B8: 7D8395C1
	s_nop 0                                                    // 0000000083BC: BF800000
	v_cndmask_b32_e32 v104, v205, v104, vcc                    // 0000000083C0: 00D0D1CD
	v_add_u32_e32 v193, 0x59, v192                             // 0000000083C4: 698380FF 00000059
	v_cmp_lt_i32_e32 vcc, v193, v202                           // 0000000083CC: 7D8395C1
	s_nop 0                                                    // 0000000083D0: BF800000
	v_cndmask_b32_e32 v105, v205, v105, vcc                    // 0000000083D4: 00D2D3CD
	v_add_u32_e32 v193, 0x5a, v192                             // 0000000083D8: 698380FF 0000005A
	v_cmp_lt_i32_e32 vcc, v193, v202                           // 0000000083E0: 7D8395C1
	s_nop 0                                                    // 0000000083E4: BF800000
	v_cndmask_b32_e32 v106, v205, v106, vcc                    // 0000000083E8: 00D4D5CD
	v_add_u32_e32 v193, 0x5b, v192                             // 0000000083EC: 698380FF 0000005B
	v_cmp_lt_i32_e32 vcc, v193, v202                           // 0000000083F4: 7D8395C1
	s_nop 0                                                    // 0000000083F8: BF800000
	v_cndmask_b32_e32 v107, v205, v107, vcc                    // 0000000083FC: 00D6D7CD
	v_add_u32_e32 v193, 0x60, v192                             // 000000008400: 698380FF 00000060
	v_cmp_lt_i32_e32 vcc, v193, v202                           // 000000008408: 7D8395C1
	s_nop 0                                                    // 00000000840C: BF800000
	v_cndmask_b32_e32 v108, v205, v108, vcc                    // 000000008410: 00D8D9CD
	v_add_u32_e32 v193, 0x61, v192                             // 000000008414: 698380FF 00000061
	v_cmp_lt_i32_e32 vcc, v193, v202                           // 00000000841C: 7D8395C1
	s_nop 0                                                    // 000000008420: BF800000
	v_cndmask_b32_e32 v109, v205, v109, vcc                    // 000000008424: 00DADBCD
	v_add_u32_e32 v193, 0x62, v192                             // 000000008428: 698380FF 00000062
	v_cmp_lt_i32_e32 vcc, v193, v202                           // 000000008430: 7D8395C1
	s_nop 0                                                    // 000000008434: BF800000
	v_cndmask_b32_e32 v110, v205, v110, vcc                    // 000000008438: 00DCDDCD
	v_add_u32_e32 v193, 0x63, v192                             // 00000000843C: 698380FF 00000063
	v_cmp_lt_i32_e32 vcc, v193, v202                           // 000000008444: 7D8395C1
	s_nop 0                                                    // 000000008448: BF800000
	v_cndmask_b32_e32 v111, v205, v111, vcc                    // 00000000844C: 00DEDFCD
	v_add_u32_e32 v193, 0x68, v192                             // 000000008450: 698380FF 00000068
	v_cmp_lt_i32_e32 vcc, v193, v202                           // 000000008458: 7D8395C1
	s_nop 0                                                    // 00000000845C: BF800000
	v_cndmask_b32_e32 v112, v205, v112, vcc                    // 000000008460: 00E0E1CD
	v_add_u32_e32 v193, 0x69, v192                             // 000000008464: 698380FF 00000069
	v_cmp_lt_i32_e32 vcc, v193, v202                           // 00000000846C: 7D8395C1
	s_nop 0                                                    // 000000008470: BF800000
	v_cndmask_b32_e32 v113, v205, v113, vcc                    // 000000008474: 00E2E3CD
	v_add_u32_e32 v193, 0x6a, v192                             // 000000008478: 698380FF 0000006A
	v_cmp_lt_i32_e32 vcc, v193, v202                           // 000000008480: 7D8395C1
	s_nop 0                                                    // 000000008484: BF800000
	v_cndmask_b32_e32 v114, v205, v114, vcc                    // 000000008488: 00E4E5CD
	v_add_u32_e32 v193, 0x6b, v192                             // 00000000848C: 698380FF 0000006B
	v_cmp_lt_i32_e32 vcc, v193, v202                           // 000000008494: 7D8395C1
	s_nop 0                                                    // 000000008498: BF800000
	v_cndmask_b32_e32 v115, v205, v115, vcc                    // 00000000849C: 00E6E7CD
	v_add_u32_e32 v193, 0x70, v192                             // 0000000084A0: 698380FF 00000070
	v_cmp_lt_i32_e32 vcc, v193, v202                           // 0000000084A8: 7D8395C1
	s_nop 0                                                    // 0000000084AC: BF800000
	v_cndmask_b32_e32 v116, v205, v116, vcc                    // 0000000084B0: 00E8E9CD
	v_add_u32_e32 v193, 0x71, v192                             // 0000000084B4: 698380FF 00000071
	v_cmp_lt_i32_e32 vcc, v193, v202                           // 0000000084BC: 7D8395C1
	s_nop 0                                                    // 0000000084C0: BF800000
	v_cndmask_b32_e32 v117, v205, v117, vcc                    // 0000000084C4: 00EAEBCD
	v_add_u32_e32 v193, 0x72, v192                             // 0000000084C8: 698380FF 00000072
	v_cmp_lt_i32_e32 vcc, v193, v202                           // 0000000084D0: 7D8395C1
	s_nop 0                                                    // 0000000084D4: BF800000
	v_cndmask_b32_e32 v118, v205, v118, vcc                    // 0000000084D8: 00ECEDCD
	v_add_u32_e32 v193, 0x73, v192                             // 0000000084DC: 698380FF 00000073
	v_cmp_lt_i32_e32 vcc, v193, v202                           // 0000000084E4: 7D8395C1
	s_nop 0                                                    // 0000000084E8: BF800000
	v_cndmask_b32_e32 v119, v205, v119, vcc                    // 0000000084EC: 00EEEFCD
	v_add_u32_e32 v193, 0x78, v192                             // 0000000084F0: 698380FF 00000078
	v_cmp_lt_i32_e32 vcc, v193, v202                           // 0000000084F8: 7D8395C1
	s_nop 0                                                    // 0000000084FC: BF800000
	v_cndmask_b32_e32 v120, v205, v120, vcc                    // 000000008500: 00F0F1CD
	v_add_u32_e32 v193, 0x79, v192                             // 000000008504: 698380FF 00000079
	v_cmp_lt_i32_e32 vcc, v193, v202                           // 00000000850C: 7D8395C1
	s_nop 0                                                    // 000000008510: BF800000
	v_cndmask_b32_e32 v121, v205, v121, vcc                    // 000000008514: 00F2F3CD
	v_add_u32_e32 v193, 0x7a, v192                             // 000000008518: 698380FF 0000007A
	v_cmp_lt_i32_e32 vcc, v193, v202                           // 000000008520: 7D8395C1
	s_nop 0                                                    // 000000008524: BF800000
	v_cndmask_b32_e32 v122, v205, v122, vcc                    // 000000008528: 00F4F5CD
	v_add_u32_e32 v193, 0x7b, v192                             // 00000000852C: 698380FF 0000007B
	v_cmp_lt_i32_e32 vcc, v193, v202                           // 000000008534: 7D8395C1
	s_nop 0                                                    // 000000008538: BF800000
	v_cndmask_b32_e32 v123, v205, v123, vcc                    // 00000000853C: 00F6F7CD
	v_mov_b32_e32 v201, v200                                   // 000000008540: 7F9203C8
	v_max3_f32 v201, v60, v61, v201                            // 000000008544: D1D300C9 07267B3C
	v_max3_f32 v201, v62, v63, v201                            // 00000000854C: D1D300C9 07267F3E
	v_max3_f32 v201, v64, v65, v201                            // 000000008554: D1D300C9 07268340
	v_max3_f32 v201, v66, v67, v201                            // 00000000855C: D1D300C9 07268742
	v_max3_f32 v201, v68, v69, v201                            // 000000008564: D1D300C9 07268B44
	v_max3_f32 v201, v70, v71, v201                            // 00000000856C: D1D300C9 07268F46
	v_max3_f32 v201, v72, v73, v201                            // 000000008574: D1D300C9 07269348
	v_max3_f32 v201, v74, v75, v201                            // 00000000857C: D1D300C9 0726974A
	v_max3_f32 v201, v76, v77, v201                            // 000000008584: D1D300C9 07269B4C
	v_max3_f32 v201, v78, v79, v201                            // 00000000858C: D1D300C9 07269F4E
	v_max3_f32 v201, v80, v81, v201                            // 000000008594: D1D300C9 0726A350
	v_max3_f32 v201, v82, v83, v201                            // 00000000859C: D1D300C9 0726A752
	v_max3_f32 v201, v84, v85, v201                            // 0000000085A4: D1D300C9 0726AB54
	v_max3_f32 v201, v86, v87, v201                            // 0000000085AC: D1D300C9 0726AF56
	v_max3_f32 v201, v88, v89, v201                            // 0000000085B4: D1D300C9 0726B358
	v_max3_f32 v201, v90, v91, v201                            // 0000000085BC: D1D300C9 0726B75A
	v_max3_f32 v201, v92, v93, v201                            // 0000000085C4: D1D300C9 0726BB5C
	v_max3_f32 v201, v94, v95, v201                            // 0000000085CC: D1D300C9 0726BF5E
	v_max3_f32 v201, v96, v97, v201                            // 0000000085D4: D1D300C9 0726C360
	v_max3_f32 v201, v98, v99, v201                            // 0000000085DC: D1D300C9 0726C762
	v_max3_f32 v201, v100, v101, v201                          // 0000000085E4: D1D300C9 0726CB64
	v_max3_f32 v201, v102, v103, v201                          // 0000000085EC: D1D300C9 0726CF66
	v_max3_f32 v201, v104, v105, v201                          // 0000000085F4: D1D300C9 0726D368
	v_max3_f32 v201, v106, v107, v201                          // 0000000085FC: D1D300C9 0726D76A
	v_max3_f32 v201, v108, v109, v201                          // 000000008604: D1D300C9 0726DB6C
	v_max3_f32 v201, v110, v111, v201                          // 00000000860C: D1D300C9 0726DF6E
	v_max3_f32 v201, v112, v113, v201                          // 000000008614: D1D300C9 0726E370
	v_max3_f32 v201, v114, v115, v201                          // 00000000861C: D1D300C9 0726E772
	v_max3_f32 v201, v116, v117, v201                          // 000000008624: D1D300C9 0726EB74
	v_max3_f32 v201, v118, v119, v201                          // 00000000862C: D1D300C9 0726EF76
	v_max3_f32 v201, v120, v121, v201                          // 000000008634: D1D300C9 0726F378
	v_max3_f32 v201, v122, v123, v201                          // 00000000863C: D1D300C9 0726F77A
	v_mov_b32_e32 v192, v201                                   // 000000008644: 7F8003C9
	s_nop 1                                                    // 000000008648: BF800001
	s_nop 0                                                    // 00000000864C: BF800000
	v_permlane32_swap_b32_e32 v192, v201                       // 000000008650: 7F80B5C9
	v_max_f32_e32 v201, v201, v192                             // 000000008654: 179381C9
	v_mul_f32_e64 v192, -s54, v201                             // 000000008658: D10500C0 20039236
	v_mov_b32_e32 v193, v192                                   // 000000008660: 7F8203C0
	v_pk_fma_f32 v[60:61], v[60:61], s[54:55], v[192:193]      // 000000008664: D3B0403C 1F006D3C
	v_pk_fma_f32 v[62:63], v[62:63], s[54:55], v[192:193]      // 00000000866C: D3B0403E 1F006D3E
	v_pk_fma_f32 v[64:65], v[64:65], s[54:55], v[192:193]      // 000000008674: D3B04040 1F006D40
	v_pk_fma_f32 v[66:67], v[66:67], s[54:55], v[192:193]      // 00000000867C: D3B04042 1F006D42
	v_pk_fma_f32 v[68:69], v[68:69], s[54:55], v[192:193]      // 000000008684: D3B04044 1F006D44
	v_pk_fma_f32 v[70:71], v[70:71], s[54:55], v[192:193]      // 00000000868C: D3B04046 1F006D46
	v_pk_fma_f32 v[72:73], v[72:73], s[54:55], v[192:193]      // 000000008694: D3B04048 1F006D48
	v_pk_fma_f32 v[74:75], v[74:75], s[54:55], v[192:193]      // 00000000869C: D3B0404A 1F006D4A
	v_pk_fma_f32 v[76:77], v[76:77], s[54:55], v[192:193]      // 0000000086A4: D3B0404C 1F006D4C
	v_pk_fma_f32 v[78:79], v[78:79], s[54:55], v[192:193]      // 0000000086AC: D3B0404E 1F006D4E
	v_pk_fma_f32 v[80:81], v[80:81], s[54:55], v[192:193]      // 0000000086B4: D3B04050 1F006D50
	v_pk_fma_f32 v[82:83], v[82:83], s[54:55], v[192:193]      // 0000000086BC: D3B04052 1F006D52
	v_pk_fma_f32 v[84:85], v[84:85], s[54:55], v[192:193]      // 0000000086C4: D3B04054 1F006D54
	v_pk_fma_f32 v[86:87], v[86:87], s[54:55], v[192:193]      // 0000000086CC: D3B04056 1F006D56
	v_pk_fma_f32 v[88:89], v[88:89], s[54:55], v[192:193]      // 0000000086D4: D3B04058 1F006D58
	v_pk_fma_f32 v[90:91], v[90:91], s[54:55], v[192:193]      // 0000000086DC: D3B0405A 1F006D5A
	v_pk_fma_f32 v[92:93], v[92:93], s[54:55], v[192:193]      // 0000000086E4: D3B0405C 1F006D5C
	v_pk_fma_f32 v[94:95], v[94:95], s[54:55], v[192:193]      // 0000000086EC: D3B0405E 1F006D5E
	v_pk_fma_f32 v[96:97], v[96:97], s[54:55], v[192:193]      // 0000000086F4: D3B04060 1F006D60
	v_pk_fma_f32 v[98:99], v[98:99], s[54:55], v[192:193]      // 0000000086FC: D3B04062 1F006D62
	v_pk_fma_f32 v[100:101], v[100:101], s[54:55], v[192:193]  // 000000008704: D3B04064 1F006D64
	v_pk_fma_f32 v[102:103], v[102:103], s[54:55], v[192:193]  // 00000000870C: D3B04066 1F006D66
	v_pk_fma_f32 v[104:105], v[104:105], s[54:55], v[192:193]  // 000000008714: D3B04068 1F006D68
	v_pk_fma_f32 v[106:107], v[106:107], s[54:55], v[192:193]  // 00000000871C: D3B0406A 1F006D6A
	v_pk_fma_f32 v[108:109], v[108:109], s[54:55], v[192:193]  // 000000008724: D3B0406C 1F006D6C
	v_pk_fma_f32 v[110:111], v[110:111], s[54:55], v[192:193]  // 00000000872C: D3B0406E 1F006D6E
	v_pk_fma_f32 v[112:113], v[112:113], s[54:55], v[192:193]  // 000000008734: D3B04070 1F006D70
	v_pk_fma_f32 v[114:115], v[114:115], s[54:55], v[192:193]  // 00000000873C: D3B04072 1F006D72
	v_pk_fma_f32 v[116:117], v[116:117], s[54:55], v[192:193]  // 000000008744: D3B04074 1F006D74
	v_pk_fma_f32 v[118:119], v[118:119], s[54:55], v[192:193]  // 00000000874C: D3B04076 1F006D76
	v_pk_fma_f32 v[120:121], v[120:121], s[54:55], v[192:193]  // 000000008754: D3B04078 1F006D78
	v_pk_fma_f32 v[122:123], v[122:123], s[54:55], v[192:193]  // 00000000875C: D3B0407A 1F006D7A
	s_barrier                                                  // 000000008764: BF8A0000
	v_exp_f32_e32 v60, v60                                     // 000000008768: 7E78413C
	v_exp_f32_e32 v61, v61                                     // 00000000876C: 7E7A413D
	v_exp_f32_e32 v62, v62                                     // 000000008770: 7E7C413E
	v_exp_f32_e32 v63, v63                                     // 000000008774: 7E7E413F
	v_exp_f32_e32 v64, v64                                     // 000000008778: 7E804140
	v_exp_f32_e32 v65, v65                                     // 00000000877C: 7E824141
	v_exp_f32_e32 v66, v66                                     // 000000008780: 7E844142
	v_exp_f32_e32 v67, v67                                     // 000000008784: 7E864143
	v_exp_f32_e32 v68, v68                                     // 000000008788: 7E884144
	v_exp_f32_e32 v69, v69                                     // 00000000878C: 7E8A4145
	v_exp_f32_e32 v70, v70                                     // 000000008790: 7E8C4146
	v_exp_f32_e32 v71, v71                                     // 000000008794: 7E8E4147
	v_exp_f32_e32 v72, v72                                     // 000000008798: 7E904148
	v_exp_f32_e32 v73, v73                                     // 00000000879C: 7E924149
	v_exp_f32_e32 v74, v74                                     // 0000000087A0: 7E94414A
	v_exp_f32_e32 v75, v75                                     // 0000000087A4: 7E96414B
	v_exp_f32_e32 v76, v76                                     // 0000000087A8: 7E98414C
	v_exp_f32_e32 v77, v77                                     // 0000000087AC: 7E9A414D
	v_exp_f32_e32 v78, v78                                     // 0000000087B0: 7E9C414E
	v_exp_f32_e32 v79, v79                                     // 0000000087B4: 7E9E414F
	v_exp_f32_e32 v80, v80                                     // 0000000087B8: 7EA04150
	v_exp_f32_e32 v81, v81                                     // 0000000087BC: 7EA24151
	v_exp_f32_e32 v82, v82                                     // 0000000087C0: 7EA44152
	v_exp_f32_e32 v83, v83                                     // 0000000087C4: 7EA64153
	v_exp_f32_e32 v84, v84                                     // 0000000087C8: 7EA84154
	v_exp_f32_e32 v85, v85                                     // 0000000087CC: 7EAA4155
	v_exp_f32_e32 v86, v86                                     // 0000000087D0: 7EAC4156
	v_exp_f32_e32 v87, v87                                     // 0000000087D4: 7EAE4157
	v_exp_f32_e32 v88, v88                                     // 0000000087D8: 7EB04158
	v_exp_f32_e32 v89, v89                                     // 0000000087DC: 7EB24159
	v_exp_f32_e32 v90, v90                                     // 0000000087E0: 7EB4415A
	v_exp_f32_e32 v91, v91                                     // 0000000087E4: 7EB6415B
	v_exp_f32_e32 v92, v92                                     // 0000000087E8: 7EB8415C
	v_exp_f32_e32 v93, v93                                     // 0000000087EC: 7EBA415D
	v_exp_f32_e32 v94, v94                                     // 0000000087F0: 7EBC415E
	v_exp_f32_e32 v95, v95                                     // 0000000087F4: 7EBE415F
	v_exp_f32_e32 v96, v96                                     // 0000000087F8: 7EC04160
	v_exp_f32_e32 v97, v97                                     // 0000000087FC: 7EC24161
	v_exp_f32_e32 v98, v98                                     // 000000008800: 7EC44162
	v_exp_f32_e32 v99, v99                                     // 000000008804: 7EC64163
	v_exp_f32_e32 v100, v100                                   // 000000008808: 7EC84164
	v_exp_f32_e32 v101, v101                                   // 00000000880C: 7ECA4165
	v_exp_f32_e32 v102, v102                                   // 000000008810: 7ECC4166
	v_exp_f32_e32 v103, v103                                   // 000000008814: 7ECE4167
	v_exp_f32_e32 v104, v104                                   // 000000008818: 7ED04168
	v_exp_f32_e32 v105, v105                                   // 00000000881C: 7ED24169
	v_exp_f32_e32 v106, v106                                   // 000000008820: 7ED4416A
	v_exp_f32_e32 v107, v107                                   // 000000008824: 7ED6416B
	v_exp_f32_e32 v108, v108                                   // 000000008828: 7ED8416C
	v_exp_f32_e32 v109, v109                                   // 00000000882C: 7EDA416D
	v_exp_f32_e32 v110, v110                                   // 000000008830: 7EDC416E
	v_exp_f32_e32 v111, v111                                   // 000000008834: 7EDE416F
	v_exp_f32_e32 v112, v112                                   // 000000008838: 7EE04170
	v_exp_f32_e32 v113, v113                                   // 00000000883C: 7EE24171
	v_exp_f32_e32 v114, v114                                   // 000000008840: 7EE44172
	v_exp_f32_e32 v115, v115                                   // 000000008844: 7EE64173
	v_exp_f32_e32 v116, v116                                   // 000000008848: 7EE84174
	v_exp_f32_e32 v117, v117                                   // 00000000884C: 7EEA4175
	v_exp_f32_e32 v118, v118                                   // 000000008850: 7EEC4176
	v_exp_f32_e32 v119, v119                                   // 000000008854: 7EEE4177
	v_exp_f32_e32 v120, v120                                   // 000000008858: 7EF04178
	v_exp_f32_e32 v121, v121                                   // 00000000885C: 7EF24179
	v_exp_f32_e32 v122, v122                                   // 000000008860: 7EF4417A
	v_exp_f32_e32 v123, v123                                   // 000000008864: 7EF6417B
	v_sub_f32_e32 v196, v200, v201                             // 000000008868: 058993C8
	v_cmp_eq_u32_e64 s[64:65], v205, v200                      // 00000000886C: D0CA0040 000391CD
	s_nop 0                                                    // 000000008874: BF800000
	v_cndmask_b32_e64 v196, v196, 0, s[64:65]                  // 000000008878: D10000C4 010101C4
	v_mov_b32_e32 v200, v201                                   // 000000008880: 7F9003C9
	v_mul_f32_e32 v196, s54, v196                              // 000000008884: 0B898836
	v_exp_f32_e32 v196, v196                                   // 000000008888: 7F8841C4
	s_nop 0                                                    // 00000000888C: BF800000
	v_mul_f32_e32 v198, v196, v198                             // 000000008890: 0B8D8DC4
	v_add_f32_e32 v198, v60, v198                              // 000000008894: 038D8D3C
	v_add_f32_e32 v198, v61, v198                              // 000000008898: 038D8D3D
	v_add_f32_e32 v198, v62, v198                              // 00000000889C: 038D8D3E
	v_add_f32_e32 v198, v63, v198                              // 0000000088A0: 038D8D3F
	v_add_f32_e32 v198, v64, v198                              // 0000000088A4: 038D8D40
	v_add_f32_e32 v198, v65, v198                              // 0000000088A8: 038D8D41
	v_add_f32_e32 v198, v66, v198                              // 0000000088AC: 038D8D42
	v_add_f32_e32 v198, v67, v198                              // 0000000088B0: 038D8D43
	v_add_f32_e32 v198, v68, v198                              // 0000000088B4: 038D8D44
	v_add_f32_e32 v198, v69, v198                              // 0000000088B8: 038D8D45
	v_add_f32_e32 v198, v70, v198                              // 0000000088BC: 038D8D46
	v_add_f32_e32 v198, v71, v198                              // 0000000088C0: 038D8D47
	v_add_f32_e32 v198, v72, v198                              // 0000000088C4: 038D8D48
	v_add_f32_e32 v198, v73, v198                              // 0000000088C8: 038D8D49
	v_add_f32_e32 v198, v74, v198                              // 0000000088CC: 038D8D4A
	v_add_f32_e32 v198, v75, v198                              // 0000000088D0: 038D8D4B
	v_add_f32_e32 v198, v76, v198                              // 0000000088D4: 038D8D4C
	v_add_f32_e32 v198, v77, v198                              // 0000000088D8: 038D8D4D
	v_add_f32_e32 v198, v78, v198                              // 0000000088DC: 038D8D4E
	v_add_f32_e32 v198, v79, v198                              // 0000000088E0: 038D8D4F
	v_add_f32_e32 v198, v80, v198                              // 0000000088E4: 038D8D50
	v_add_f32_e32 v198, v81, v198                              // 0000000088E8: 038D8D51
	v_add_f32_e32 v198, v82, v198                              // 0000000088EC: 038D8D52
	v_add_f32_e32 v198, v83, v198                              // 0000000088F0: 038D8D53
	v_add_f32_e32 v198, v84, v198                              // 0000000088F4: 038D8D54
	v_add_f32_e32 v198, v85, v198                              // 0000000088F8: 038D8D55
	v_add_f32_e32 v198, v86, v198                              // 0000000088FC: 038D8D56
	v_add_f32_e32 v198, v87, v198                              // 000000008900: 038D8D57
	v_add_f32_e32 v198, v88, v198                              // 000000008904: 038D8D58
	v_add_f32_e32 v198, v89, v198                              // 000000008908: 038D8D59
	v_add_f32_e32 v198, v90, v198                              // 00000000890C: 038D8D5A
	v_add_f32_e32 v198, v91, v198                              // 000000008910: 038D8D5B
	v_add_f32_e32 v198, v92, v198                              // 000000008914: 038D8D5C
	v_add_f32_e32 v198, v93, v198                              // 000000008918: 038D8D5D
	v_add_f32_e32 v198, v94, v198                              // 00000000891C: 038D8D5E
	v_add_f32_e32 v198, v95, v198                              // 000000008920: 038D8D5F
	v_add_f32_e32 v198, v96, v198                              // 000000008924: 038D8D60
	v_add_f32_e32 v198, v97, v198                              // 000000008928: 038D8D61
	v_add_f32_e32 v198, v98, v198                              // 00000000892C: 038D8D62
	v_add_f32_e32 v198, v99, v198                              // 000000008930: 038D8D63
	v_add_f32_e32 v198, v100, v198                             // 000000008934: 038D8D64
	v_add_f32_e32 v198, v101, v198                             // 000000008938: 038D8D65
	v_add_f32_e32 v198, v102, v198                             // 00000000893C: 038D8D66
	v_add_f32_e32 v198, v103, v198                             // 000000008940: 038D8D67
	v_add_f32_e32 v198, v104, v198                             // 000000008944: 038D8D68
	v_add_f32_e32 v198, v105, v198                             // 000000008948: 038D8D69
	v_add_f32_e32 v198, v106, v198                             // 00000000894C: 038D8D6A
	v_add_f32_e32 v198, v107, v198                             // 000000008950: 038D8D6B
	v_add_f32_e32 v198, v108, v198                             // 000000008954: 038D8D6C
	v_add_f32_e32 v198, v109, v198                             // 000000008958: 038D8D6D
	v_add_f32_e32 v198, v110, v198                             // 00000000895C: 038D8D6E
	v_add_f32_e32 v198, v111, v198                             // 000000008960: 038D8D6F
	v_add_f32_e32 v198, v112, v198                             // 000000008964: 038D8D70
	v_add_f32_e32 v198, v113, v198                             // 000000008968: 038D8D71
	v_add_f32_e32 v198, v114, v198                             // 00000000896C: 038D8D72
	v_add_f32_e32 v198, v115, v198                             // 000000008970: 038D8D73
	v_add_f32_e32 v198, v116, v198                             // 000000008974: 038D8D74
	v_add_f32_e32 v198, v117, v198                             // 000000008978: 038D8D75
	v_add_f32_e32 v198, v118, v198                             // 00000000897C: 038D8D76
	v_add_f32_e32 v198, v119, v198                             // 000000008980: 038D8D77
	v_add_f32_e32 v198, v120, v198                             // 000000008984: 038D8D78
	v_add_f32_e32 v198, v121, v198                             // 000000008988: 038D8D79
	v_add_f32_e32 v198, v122, v198                             // 00000000898C: 038D8D7A
	v_add_f32_e32 v198, v123, v198                             // 000000008990: 038D8D7B
	v_mul_f32_e32 v124, v196, v124                             // 000000008994: 0AF8F9C4
	v_mul_f32_e32 v125, v196, v125                             // 000000008998: 0AFAFBC4
	v_mul_f32_e32 v126, v196, v126                             // 00000000899C: 0AFCFDC4
	v_mul_f32_e32 v127, v196, v127                             // 0000000089A0: 0AFEFFC4
	v_mul_f32_e32 v128, v196, v128                             // 0000000089A4: 0B0101C4
	v_mul_f32_e32 v129, v196, v129                             // 0000000089A8: 0B0303C4
	v_mul_f32_e32 v130, v196, v130                             // 0000000089AC: 0B0505C4
	v_mul_f32_e32 v131, v196, v131                             // 0000000089B0: 0B0707C4
	v_mul_f32_e32 v132, v196, v132                             // 0000000089B4: 0B0909C4
	v_mul_f32_e32 v133, v196, v133                             // 0000000089B8: 0B0B0BC4
	v_mul_f32_e32 v134, v196, v134                             // 0000000089BC: 0B0D0DC4
	v_mul_f32_e32 v135, v196, v135                             // 0000000089C0: 0B0F0FC4
	v_mul_f32_e32 v136, v196, v136                             // 0000000089C4: 0B1111C4
	v_mul_f32_e32 v137, v196, v137                             // 0000000089C8: 0B1313C4
	v_mul_f32_e32 v138, v196, v138                             // 0000000089CC: 0B1515C4
	v_mul_f32_e32 v139, v196, v139                             // 0000000089D0: 0B1717C4
	v_mul_f32_e32 v140, v196, v140                             // 0000000089D4: 0B1919C4
	v_mul_f32_e32 v141, v196, v141                             // 0000000089D8: 0B1B1BC4
	v_mul_f32_e32 v142, v196, v142                             // 0000000089DC: 0B1D1DC4
	v_mul_f32_e32 v143, v196, v143                             // 0000000089E0: 0B1F1FC4
	v_mul_f32_e32 v144, v196, v144                             // 0000000089E4: 0B2121C4
	v_mul_f32_e32 v145, v196, v145                             // 0000000089E8: 0B2323C4
	v_mul_f32_e32 v146, v196, v146                             // 0000000089EC: 0B2525C4
	v_mul_f32_e32 v147, v196, v147                             // 0000000089F0: 0B2727C4
	v_mul_f32_e32 v148, v196, v148                             // 0000000089F4: 0B2929C4
	s_waitcnt vmcnt(0)                                         // 0000000089F8: BF8C0F70
	s_barrier                                                  // 0000000089FC: BF8A0000
	v_mul_f32_e32 v149, v196, v149                             // 000000008A00: 0B2B2BC4
	v_mul_f32_e32 v150, v196, v150                             // 000000008A04: 0B2D2DC4
	v_mul_f32_e32 v151, v196, v151                             // 000000008A08: 0B2F2FC4
	v_mul_f32_e32 v152, v196, v152                             // 000000008A0C: 0B3131C4
	v_mul_f32_e32 v153, v196, v153                             // 000000008A10: 0B3333C4
	v_mul_f32_e32 v154, v196, v154                             // 000000008A14: 0B3535C4
	v_mul_f32_e32 v155, v196, v155                             // 000000008A18: 0B3737C4
	v_mul_f32_e32 v156, v196, v156                             // 000000008A1C: 0B3939C4
	v_mul_f32_e32 v157, v196, v157                             // 000000008A20: 0B3B3BC4
	v_mul_f32_e32 v158, v196, v158                             // 000000008A24: 0B3D3DC4
	v_mul_f32_e32 v159, v196, v159                             // 000000008A28: 0B3F3FC4
	v_mul_f32_e32 v160, v196, v160                             // 000000008A2C: 0B4141C4
	v_mul_f32_e32 v161, v196, v161                             // 000000008A30: 0B4343C4
	v_mul_f32_e32 v162, v196, v162                             // 000000008A34: 0B4545C4
	v_mul_f32_e32 v163, v196, v163                             // 000000008A38: 0B4747C4
	v_mul_f32_e32 v164, v196, v164                             // 000000008A3C: 0B4949C4
	v_mul_f32_e32 v165, v196, v165                             // 000000008A40: 0B4B4BC4
	v_mul_f32_e32 v166, v196, v166                             // 000000008A44: 0B4D4DC4
	v_mul_f32_e32 v167, v196, v167                             // 000000008A48: 0B4F4FC4
	v_mul_f32_e32 v168, v196, v168                             // 000000008A4C: 0B5151C4
	v_mul_f32_e32 v169, v196, v169                             // 000000008A50: 0B5353C4
	v_mul_f32_e32 v170, v196, v170                             // 000000008A54: 0B5555C4
	v_mul_f32_e32 v171, v196, v171                             // 000000008A58: 0B5757C4
	v_mul_f32_e32 v172, v196, v172                             // 000000008A5C: 0B5959C4
	v_mul_f32_e32 v173, v196, v173                             // 000000008A60: 0B5B5BC4
	v_mul_f32_e32 v174, v196, v174                             // 000000008A64: 0B5D5DC4
	v_mul_f32_e32 v175, v196, v175                             // 000000008A68: 0B5F5FC4
	v_mul_f32_e32 v176, v196, v176                             // 000000008A6C: 0B6161C4
	v_mul_f32_e32 v177, v196, v177                             // 000000008A70: 0B6363C4
	v_mul_f32_e32 v178, v196, v178                             // 000000008A74: 0B6565C4
	v_mul_f32_e32 v179, v196, v179                             // 000000008A78: 0B6767C4
	v_mul_f32_e32 v180, v196, v180                             // 000000008A7C: 0B6969C4
	v_mul_f32_e32 v181, v196, v181                             // 000000008A80: 0B6B6BC4
	v_mul_f32_e32 v182, v196, v182                             // 000000008A84: 0B6D6DC4
	v_mul_f32_e32 v183, v196, v183                             // 000000008A88: 0B6F6FC4
	v_mul_f32_e32 v184, v196, v184                             // 000000008A8C: 0B7171C4
	v_mul_f32_e32 v185, v196, v185                             // 000000008A90: 0B7373C4
	v_mul_f32_e32 v186, v196, v186                             // 000000008A94: 0B7575C4
	v_mul_f32_e32 v187, v196, v187                             // 000000008A98: 0B7777C4
	s_barrier                                                  // 000000008A9C: BF8A0000
	v_cvt_pk_fp8_f32 v60, v60, v61                             // 000000008AA0: D2A2003C 00027B3C
	v_cvt_pk_fp8_f32 v60, v62, v63 op_sel:[0,0,1]              // 000000008AA8: D2A2403C 00027F3E
	v_cvt_pk_fp8_f32 v61, v64, v65                             // 000000008AB0: D2A2003D 00028340
	v_cvt_pk_fp8_f32 v61, v66, v67 op_sel:[0,0,1]              // 000000008AB8: D2A2403D 00028742
	v_cvt_pk_fp8_f32 v62, v68, v69                             // 000000008AC0: D2A2003E 00028B44
	v_cvt_pk_fp8_f32 v62, v70, v71 op_sel:[0,0,1]              // 000000008AC8: D2A2403E 00028F46
	v_cvt_pk_fp8_f32 v63, v72, v73                             // 000000008AD0: D2A2003F 00029348
	v_cvt_pk_fp8_f32 v63, v74, v75 op_sel:[0,0,1]              // 000000008AD8: D2A2403F 0002974A
	v_cvt_pk_fp8_f32 v64, v76, v77                             // 000000008AE0: D2A20040 00029B4C
	v_cvt_pk_fp8_f32 v64, v78, v79 op_sel:[0,0,1]              // 000000008AE8: D2A24040 00029F4E
	v_cvt_pk_fp8_f32 v65, v80, v81                             // 000000008AF0: D2A20041 0002A350
	v_cvt_pk_fp8_f32 v65, v82, v83 op_sel:[0,0,1]              // 000000008AF8: D2A24041 0002A752
	v_cvt_pk_fp8_f32 v66, v84, v85                             // 000000008B00: D2A20042 0002AB54
	v_cvt_pk_fp8_f32 v66, v86, v87 op_sel:[0,0,1]              // 000000008B08: D2A24042 0002AF56
	v_cvt_pk_fp8_f32 v67, v88, v89                             // 000000008B10: D2A20043 0002B358
	v_cvt_pk_fp8_f32 v67, v90, v91 op_sel:[0,0,1]              // 000000008B18: D2A24043 0002B75A
	v_cvt_pk_fp8_f32 v68, v92, v93                             // 000000008B20: D2A20044 0002BB5C
	v_cvt_pk_fp8_f32 v68, v94, v95 op_sel:[0,0,1]              // 000000008B28: D2A24044 0002BF5E
	v_cvt_pk_fp8_f32 v69, v96, v97                             // 000000008B30: D2A20045 0002C360
	v_cvt_pk_fp8_f32 v69, v98, v99 op_sel:[0,0,1]              // 000000008B38: D2A24045 0002C762
	v_cvt_pk_fp8_f32 v70, v100, v101                           // 000000008B40: D2A20046 0002CB64
	v_cvt_pk_fp8_f32 v70, v102, v103 op_sel:[0,0,1]            // 000000008B48: D2A24046 0002CF66
	v_cvt_pk_fp8_f32 v71, v104, v105                           // 000000008B50: D2A20047 0002D368
	v_cvt_pk_fp8_f32 v71, v106, v107 op_sel:[0,0,1]            // 000000008B58: D2A24047 0002D76A
	v_cvt_pk_fp8_f32 v72, v108, v109                           // 000000008B60: D2A20048 0002DB6C
	v_cvt_pk_fp8_f32 v72, v110, v111 op_sel:[0,0,1]            // 000000008B68: D2A24048 0002DF6E
	v_cvt_pk_fp8_f32 v73, v112, v113                           // 000000008B70: D2A20049 0002E370
	v_cvt_pk_fp8_f32 v73, v114, v115 op_sel:[0,0,1]            // 000000008B78: D2A24049 0002E772
	v_cvt_pk_fp8_f32 v74, v116, v117                           // 000000008B80: D2A2004A 0002EB74
	v_cvt_pk_fp8_f32 v74, v118, v119 op_sel:[0,0,1]            // 000000008B88: D2A2404A 0002EF76
	v_cvt_pk_fp8_f32 v75, v120, v121                           // 000000008B90: D2A2004B 0002F378
	v_cvt_pk_fp8_f32 v75, v122, v123 op_sel:[0,0,1]            // 000000008B98: D2A2404B 0002F77A
	s_barrier                                                  // 000000008BA0: BF8A0000
	s_waitcnt lgkmcnt(8)                                       // 000000008BA4: BF8CC87F
	s_setprio 1                                                // 000000008BA8: BF8F0001
	s_barrier                                                  // 000000008BAC: BF8A0000
	v_mfma_f32_32x32x64_f8f6f4 v[124:139], v[28:35], v[60:67], v[124:139]// 000000008BB0: D3AE007C 05F2791C
	ds_read_b64_tr_b8 v[52:53], v227 offset:24992              // 000000008BB8: D9C461A0 340000E3
	ds_read_b64_tr_b8 v[54:55], v227 offset:25248              // 000000008BC0: D9C462A0 360000E3
	ds_read_b64_tr_b8 v[56:57], v227 offset:25504              // 000000008BC8: D9C463A0 380000E3
	ds_read_b64_tr_b8 v[58:59], v227 offset:25760              // 000000008BD0: D9C464A0 3A0000E3
	s_waitcnt lgkmcnt(8)                                       // 000000008BD8: BF8CC87F
	v_mfma_f32_32x32x64_f8f6f4 v[124:139], v[36:43], v[68:75], v[124:139]// 000000008BDC: D3AE007C 05F28924
	ds_read_b64_tr_b8 v[28:29], v227 offset:16704              // 000000008BE4: D9C44140 1C0000E3
	ds_read_b64_tr_b8 v[30:31], v227 offset:16960              // 000000008BEC: D9C44240 1E0000E3
	ds_read_b64_tr_b8 v[32:33], v227 offset:17216              // 000000008BF4: D9C44340 200000E3
	ds_read_b64_tr_b8 v[34:35], v227 offset:17472              // 000000008BFC: D9C44440 220000E3
	s_waitcnt lgkmcnt(8)                                       // 000000008C04: BF8CC87F
	v_mfma_f32_32x32x64_f8f6f4 v[140:155], v[44:51], v[60:67], v[140:155]// 000000008C08: D3AE008C 0632792C
	ds_read_b64_tr_b8 v[36:37], v227 offset:25024              // 000000008C10: D9C461C0 240000E3
	ds_read_b64_tr_b8 v[38:39], v227 offset:25280              // 000000008C18: D9C462C0 260000E3
	ds_read_b64_tr_b8 v[40:41], v227 offset:25536              // 000000008C20: D9C463C0 280000E3
	ds_read_b64_tr_b8 v[42:43], v227 offset:25792              // 000000008C28: D9C464C0 2A0000E3
	s_waitcnt lgkmcnt(8)                                       // 000000008C30: BF8CC87F
	v_mfma_f32_32x32x64_f8f6f4 v[140:155], v[52:59], v[68:75], v[140:155]// 000000008C34: D3AE008C 06328934
	ds_read_b64_tr_b8 v[44:45], v227 offset:16736              // 000000008C3C: D9C44160 2C0000E3
	ds_read_b64_tr_b8 v[46:47], v227 offset:16992              // 000000008C44: D9C44260 2E0000E3
	ds_read_b64_tr_b8 v[48:49], v227 offset:17248              // 000000008C4C: D9C44360 300000E3
	ds_read_b64_tr_b8 v[50:51], v227 offset:17504              // 000000008C54: D9C44460 320000E3
	s_waitcnt lgkmcnt(8)                                       // 000000008C5C: BF8CC87F
	v_mfma_f32_32x32x64_f8f6f4 v[156:171], v[28:35], v[60:67], v[156:171]// 000000008C60: D3AE009C 0672791C
	ds_read_b64_tr_b8 v[52:53], v227 offset:25056              // 000000008C68: D9C461E0 340000E3
	ds_read_b64_tr_b8 v[54:55], v227 offset:25312              // 000000008C70: D9C462E0 360000E3
	ds_read_b64_tr_b8 v[56:57], v227 offset:25568              // 000000008C78: D9C463E0 380000E3
	ds_read_b64_tr_b8 v[58:59], v227 offset:25824              // 000000008C80: D9C464E0 3A0000E3
	s_waitcnt lgkmcnt(8)                                       // 000000008C88: BF8CC87F
	v_mfma_f32_32x32x64_f8f6f4 v[156:171], v[36:43], v[68:75], v[156:171]// 000000008C8C: D3AE009C 06728924
	ds_read_b128 v[28:31], v226                                // 000000008C94: D9FE0000 1C0000E2
	ds_read_b128 v[32:35], v226 offset:32                      // 000000008C9C: D9FE0020 200000E2
	s_waitcnt lgkmcnt(6)                                       // 000000008CA4: BF8CC67F
	v_mfma_f32_32x32x64_f8f6f4 v[172:187], v[44:51], v[60:67], v[172:187]// 000000008CA8: D3AE00AC 06B2792C
	ds_read_b128 v[36:39], v226 offset:4160                    // 000000008CB0: D9FE1040 240000E2
	ds_read_b128 v[40:43], v226 offset:4192                    // 000000008CB8: D9FE1060 280000E2
	s_waitcnt lgkmcnt(4)                                       // 000000008CC0: BF8CC47F
	v_mfma_f32_32x32x64_f8f6f4 v[172:187], v[52:59], v[68:75], v[172:187]// 000000008CC4: D3AE00AC 06B28934
	ds_read_b128 v[44:47], v226 offset:8320                    // 000000008CCC: D9FE2080 2C0000E2
	ds_read_b128 v[48:51], v226 offset:8352                    // 000000008CD4: D9FE20A0 300000E2
	s_addk_i32 s72, 0x80                                       // 000000008CDC: B7480080
	s_branch label_131E                                        // 000000008CE0: BF82F8E5

0000000000008ce4 <label_1A39>:
	s_barrier                                                  // 000000008CE4: BF8A0000
	s_barrier                                                  // 000000008CE8: BF8A0000
	s_barrier                                                  // 000000008CEC: BF8A0000
	s_barrier                                                  // 000000008CF0: BF8A0000

0000000000008cf4 <label_1A3D>:
	v_mov_b32_e32 v192, v198                                   // 000000008CF4: 7F8003C6
	s_nop 1                                                    // 000000008CF8: BF800001
	v_permlane32_swap_b32_e32 v192, v198                       // 000000008CFC: 7F80B5C6
	v_add_f32_e32 v198, v198, v192                             // 000000008D00: 038D81C6
	s_cmp_eq_i32 s85, -1                                       // 000000008D04: BF00C155
	s_cbranch_scc0 label_1AF9                                  // 000000008D08: BF8400B6
	v_rcp_f32_e32 v194, v198                                   // 000000008D0C: 7F8445C6
	v_cmp_eq_u32_e64 s[64:65], 0, v198                         // 000000008D10: D0CA0040 00038C80
	s_nop 0                                                    // 000000008D18: BF800000
	v_cndmask_b32_e64 v194, v194, 0, s[64:65]                  // 000000008D1C: D10000C2 010101C2
	v_mul_f32_e32 v194, s80, v194                              // 000000008D24: 0B858450
	v_mov_b32_e32 v195, v194                                   // 000000008D28: 7F8603C2
	v_pk_mul_f32 v[124:125], v[124:125], v[194:195]            // 000000008D2C: D3B1407C 1803857C
	v_pk_mul_f32 v[126:127], v[126:127], v[194:195]            // 000000008D34: D3B1407E 1803857E
	v_pk_mul_f32 v[128:129], v[128:129], v[194:195]            // 000000008D3C: D3B14080 18038580
	v_pk_mul_f32 v[130:131], v[130:131], v[194:195]            // 000000008D44: D3B14082 18038582
	v_pk_mul_f32 v[132:133], v[132:133], v[194:195]            // 000000008D4C: D3B14084 18038584
	v_pk_mul_f32 v[134:135], v[134:135], v[194:195]            // 000000008D54: D3B14086 18038586
	v_pk_mul_f32 v[136:137], v[136:137], v[194:195]            // 000000008D5C: D3B14088 18038588
	v_pk_mul_f32 v[138:139], v[138:139], v[194:195]            // 000000008D64: D3B1408A 1803858A
	v_pk_mul_f32 v[140:141], v[140:141], v[194:195]            // 000000008D6C: D3B1408C 1803858C
	v_pk_mul_f32 v[142:143], v[142:143], v[194:195]            // 000000008D74: D3B1408E 1803858E
	v_pk_mul_f32 v[144:145], v[144:145], v[194:195]            // 000000008D7C: D3B14090 18038590
	v_pk_mul_f32 v[146:147], v[146:147], v[194:195]            // 000000008D84: D3B14092 18038592
	v_pk_mul_f32 v[148:149], v[148:149], v[194:195]            // 000000008D8C: D3B14094 18038594
	v_pk_mul_f32 v[150:151], v[150:151], v[194:195]            // 000000008D94: D3B14096 18038596
	v_pk_mul_f32 v[152:153], v[152:153], v[194:195]            // 000000008D9C: D3B14098 18038598
	v_pk_mul_f32 v[154:155], v[154:155], v[194:195]            // 000000008DA4: D3B1409A 1803859A
	v_pk_mul_f32 v[156:157], v[156:157], v[194:195]            // 000000008DAC: D3B1409C 1803859C
	v_pk_mul_f32 v[158:159], v[158:159], v[194:195]            // 000000008DB4: D3B1409E 1803859E
	v_pk_mul_f32 v[160:161], v[160:161], v[194:195]            // 000000008DBC: D3B140A0 180385A0
	v_pk_mul_f32 v[162:163], v[162:163], v[194:195]            // 000000008DC4: D3B140A2 180385A2
	v_pk_mul_f32 v[164:165], v[164:165], v[194:195]            // 000000008DCC: D3B140A4 180385A4
	v_pk_mul_f32 v[166:167], v[166:167], v[194:195]            // 000000008DD4: D3B140A6 180385A6
	v_pk_mul_f32 v[168:169], v[168:169], v[194:195]            // 000000008DDC: D3B140A8 180385A8
	v_pk_mul_f32 v[170:171], v[170:171], v[194:195]            // 000000008DE4: D3B140AA 180385AA
	v_pk_mul_f32 v[172:173], v[172:173], v[194:195]            // 000000008DEC: D3B140AC 180385AC
	v_pk_mul_f32 v[174:175], v[174:175], v[194:195]            // 000000008DF4: D3B140AE 180385AE
	v_pk_mul_f32 v[176:177], v[176:177], v[194:195]            // 000000008DFC: D3B140B0 180385B0
	v_pk_mul_f32 v[178:179], v[178:179], v[194:195]            // 000000008E04: D3B140B2 180385B2
	v_pk_mul_f32 v[180:181], v[180:181], v[194:195]            // 000000008E0C: D3B140B4 180385B4
	v_pk_mul_f32 v[182:183], v[182:183], v[194:195]            // 000000008E14: D3B140B6 180385B6
	v_pk_mul_f32 v[184:185], v[184:185], v[194:195]            // 000000008E1C: D3B140B8 180385B8
	v_pk_mul_f32 v[186:187], v[186:187], v[194:195]            // 000000008E24: D3B140BA 180385BA
	v_cvt_pk_bf16_f32 v124, v124, v125                         // 000000008E2C: D268007C 0002FB7C
	v_cvt_pk_bf16_f32 v125, v126, v127                         // 000000008E34: D268007D 0002FF7E
	v_cvt_pk_bf16_f32 v126, v128, v129                         // 000000008E3C: D268007E 00030380
	v_cvt_pk_bf16_f32 v127, v130, v131                         // 000000008E44: D268007F 00030782
	v_cvt_pk_bf16_f32 v128, v132, v133                         // 000000008E4C: D2680080 00030B84
	v_cvt_pk_bf16_f32 v129, v134, v135                         // 000000008E54: D2680081 00030F86
	v_cvt_pk_bf16_f32 v130, v136, v137                         // 000000008E5C: D2680082 00031388
	v_cvt_pk_bf16_f32 v131, v138, v139                         // 000000008E64: D2680083 0003178A
	v_permlane32_swap_b32_e32 v124, v126                       // 000000008E6C: 7EF8B57E
	v_permlane32_swap_b32_e32 v125, v127                       // 000000008E70: 7EFAB57F
	v_permlane32_swap_b32_e32 v128, v130                       // 000000008E74: 7F00B582
	v_permlane32_swap_b32_e32 v129, v131                       // 000000008E78: 7F02B583
	v_add_u32_e32 v192, 0, v229                                // 000000008E7C: 6981CA80
	buffer_store_dwordx4 v[124:127], v192, s[16:19], 0 offen   // 000000008E80: E07C1000 80047CC0
	v_add_u32_e32 v192, 32, v229                               // 000000008E88: 6981CAA0
	buffer_store_dwordx4 v[128:131], v192, s[16:19], 0 offen   // 000000008E8C: E07C1000 800480C0
	v_cvt_pk_bf16_f32 v132, v140, v141                         // 000000008E94: D2680084 00031B8C
	v_cvt_pk_bf16_f32 v133, v142, v143                         // 000000008E9C: D2680085 00031F8E
	v_cvt_pk_bf16_f32 v134, v144, v145                         // 000000008EA4: D2680086 00032390
	v_cvt_pk_bf16_f32 v135, v146, v147                         // 000000008EAC: D2680087 00032792
	v_cvt_pk_bf16_f32 v136, v148, v149                         // 000000008EB4: D2680088 00032B94
	v_cvt_pk_bf16_f32 v137, v150, v151                         // 000000008EBC: D2680089 00032F96
	v_cvt_pk_bf16_f32 v138, v152, v153                         // 000000008EC4: D268008A 00033398
	v_cvt_pk_bf16_f32 v139, v154, v155                         // 000000008ECC: D268008B 0003379A
	v_permlane32_swap_b32_e32 v132, v134                       // 000000008ED4: 7F08B586
	v_permlane32_swap_b32_e32 v133, v135                       // 000000008ED8: 7F0AB587
	v_permlane32_swap_b32_e32 v136, v138                       // 000000008EDC: 7F10B58A
	v_permlane32_swap_b32_e32 v137, v139                       // 000000008EE0: 7F12B58B
	v_add_u32_e32 v192, 64, v229                               // 000000008EE4: 6981CAC0
	buffer_store_dwordx4 v[132:135], v192, s[16:19], 0 offen   // 000000008EE8: E07C1000 800484C0
	v_add_u32_e32 v192, 0x60, v229                             // 000000008EF0: 6981CAFF 00000060
	buffer_store_dwordx4 v[136:139], v192, s[16:19], 0 offen   // 000000008EF8: E07C1000 800488C0
	v_cvt_pk_bf16_f32 v140, v156, v157                         // 000000008F00: D268008C 00033B9C
	v_cvt_pk_bf16_f32 v141, v158, v159                         // 000000008F08: D268008D 00033F9E
	v_cvt_pk_bf16_f32 v142, v160, v161                         // 000000008F10: D268008E 000343A0
	v_cvt_pk_bf16_f32 v143, v162, v163                         // 000000008F18: D268008F 000347A2
	v_cvt_pk_bf16_f32 v144, v164, v165                         // 000000008F20: D2680090 00034BA4
	v_cvt_pk_bf16_f32 v145, v166, v167                         // 000000008F28: D2680091 00034FA6
	v_cvt_pk_bf16_f32 v146, v168, v169                         // 000000008F30: D2680092 000353A8
	v_cvt_pk_bf16_f32 v147, v170, v171                         // 000000008F38: D2680093 000357AA
	v_permlane32_swap_b32_e32 v140, v142                       // 000000008F40: 7F18B58E
	v_permlane32_swap_b32_e32 v141, v143                       // 000000008F44: 7F1AB58F
	v_permlane32_swap_b32_e32 v144, v146                       // 000000008F48: 7F20B592
	v_permlane32_swap_b32_e32 v145, v147                       // 000000008F4C: 7F22B593
	v_add_u32_e32 v192, 0x80, v229                             // 000000008F50: 6981CAFF 00000080
	buffer_store_dwordx4 v[140:143], v192, s[16:19], 0 offen   // 000000008F58: E07C1000 80048CC0
	v_add_u32_e32 v192, 0xa0, v229                             // 000000008F60: 6981CAFF 000000A0
	buffer_store_dwordx4 v[144:147], v192, s[16:19], 0 offen   // 000000008F68: E07C1000 800490C0
	v_cvt_pk_bf16_f32 v148, v172, v173                         // 000000008F70: D2680094 00035BAC
	v_cvt_pk_bf16_f32 v149, v174, v175                         // 000000008F78: D2680095 00035FAE
	v_cvt_pk_bf16_f32 v150, v176, v177                         // 000000008F80: D2680096 000363B0
	v_cvt_pk_bf16_f32 v151, v178, v179                         // 000000008F88: D2680097 000367B2
	v_cvt_pk_bf16_f32 v152, v180, v181                         // 000000008F90: D2680098 00036BB4
	v_cvt_pk_bf16_f32 v153, v182, v183                         // 000000008F98: D2680099 00036FB6
	v_cvt_pk_bf16_f32 v154, v184, v185                         // 000000008FA0: D268009A 000373B8
	v_cvt_pk_bf16_f32 v155, v186, v187                         // 000000008FA8: D268009B 000377BA
	v_permlane32_swap_b32_e32 v148, v150                       // 000000008FB0: 7F28B596
	v_permlane32_swap_b32_e32 v149, v151                       // 000000008FB4: 7F2AB597
	v_permlane32_swap_b32_e32 v152, v154                       // 000000008FB8: 7F30B59A
	v_permlane32_swap_b32_e32 v153, v155                       // 000000008FBC: 7F32B59B
	v_add_u32_e32 v192, 0xc0, v229                             // 000000008FC0: 6981CAFF 000000C0
	buffer_store_dwordx4 v[148:151], v192, s[16:19], 0 offen   // 000000008FC8: E07C1000 800494C0
	v_add_u32_e32 v192, 0xe0, v229                             // 000000008FD0: 6981CAFF 000000E0
	buffer_store_dwordx4 v[152:155], v192, s[16:19], 0 offen   // 000000008FD8: E07C1000 800498C0
	s_branch label_1B87                                        // 000000008FE0: BF82008E

0000000000008fe4 <label_1AF9>:
	v_log_f32_e32 v192, v198                                   // 000000008FE4: 7F8043C6
	v_rcp_f32_e32 v193, 0x3fb8aa3b                             // 000000008FE8: 7F8244FF 3FB8AA3B
	s_nop 0                                                    // 000000008FF0: BF800000
	v_mul_f32_e32 v192, v192, v193                             // 000000008FF4: 0B8183C0
	v_fma_f32 v191, v200, s56, v192                            // 000000008FF8: D1CB00BF 070071C8
	buffer_store_dword v191, v233, s[24:27], 0 offen           // 000000009000: E0701000 8006BFE9
	v_rcp_f32_e32 v194, v198                                   // 000000009008: 7F8445C6
	v_cmp_eq_u32_e64 s[64:65], 0, v198                         // 00000000900C: D0CA0040 00038C80
	s_nop 0                                                    // 000000009014: BF800000
	v_cndmask_b32_e64 v194, v194, 0, s[64:65]                  // 000000009018: D10000C2 010101C2
	v_mul_f32_e32 v194, s80, v194                              // 000000009020: 0B858450
	v_mov_b32_e32 v195, v194                                   // 000000009024: 7F8603C2
	v_pk_mul_f32 v[124:125], v[124:125], v[194:195]            // 000000009028: D3B1407C 1803857C
	v_pk_mul_f32 v[126:127], v[126:127], v[194:195]            // 000000009030: D3B1407E 1803857E
	v_pk_mul_f32 v[128:129], v[128:129], v[194:195]            // 000000009038: D3B14080 18038580
	v_pk_mul_f32 v[130:131], v[130:131], v[194:195]            // 000000009040: D3B14082 18038582
	v_pk_mul_f32 v[132:133], v[132:133], v[194:195]            // 000000009048: D3B14084 18038584
	v_pk_mul_f32 v[134:135], v[134:135], v[194:195]            // 000000009050: D3B14086 18038586
	v_pk_mul_f32 v[136:137], v[136:137], v[194:195]            // 000000009058: D3B14088 18038588
	v_pk_mul_f32 v[138:139], v[138:139], v[194:195]            // 000000009060: D3B1408A 1803858A
	v_add_u32_e32 v192, 0, v231                                // 000000009068: 6981CE80
	buffer_store_dwordx4 v[124:127], v192, s[20:23], 0 offen   // 00000000906C: E07C1000 80057CC0
	v_add_u32_e32 v192, 32, v231                               // 000000009074: 6981CEA0
	buffer_store_dwordx4 v[128:131], v192, s[20:23], 0 offen   // 000000009078: E07C1000 800580C0
	v_add_u32_e32 v192, 64, v231                               // 000000009080: 6981CEC0
	buffer_store_dwordx4 v[132:135], v192, s[20:23], 0 offen   // 000000009084: E07C1000 800584C0
	v_add_u32_e32 v192, 0x60, v231                             // 00000000908C: 6981CEFF 00000060
	buffer_store_dwordx4 v[136:139], v192, s[20:23], 0 offen   // 000000009094: E07C1000 800588C0
	v_pk_mul_f32 v[140:141], v[140:141], v[194:195]            // 00000000909C: D3B1408C 1803858C
	v_pk_mul_f32 v[142:143], v[142:143], v[194:195]            // 0000000090A4: D3B1408E 1803858E
	v_pk_mul_f32 v[144:145], v[144:145], v[194:195]            // 0000000090AC: D3B14090 18038590
	v_pk_mul_f32 v[146:147], v[146:147], v[194:195]            // 0000000090B4: D3B14092 18038592
	v_pk_mul_f32 v[148:149], v[148:149], v[194:195]            // 0000000090BC: D3B14094 18038594
	v_pk_mul_f32 v[150:151], v[150:151], v[194:195]            // 0000000090C4: D3B14096 18038596
	v_pk_mul_f32 v[152:153], v[152:153], v[194:195]            // 0000000090CC: D3B14098 18038598
	v_pk_mul_f32 v[154:155], v[154:155], v[194:195]            // 0000000090D4: D3B1409A 1803859A
	v_add_u32_e32 v192, 0x80, v231                             // 0000000090DC: 6981CEFF 00000080
	buffer_store_dwordx4 v[140:143], v192, s[20:23], 0 offen   // 0000000090E4: E07C1000 80058CC0
	v_add_u32_e32 v192, 0xa0, v231                             // 0000000090EC: 6981CEFF 000000A0
	buffer_store_dwordx4 v[144:147], v192, s[20:23], 0 offen   // 0000000090F4: E07C1000 800590C0
	v_add_u32_e32 v192, 0xc0, v231                             // 0000000090FC: 6981CEFF 000000C0
	buffer_store_dwordx4 v[148:151], v192, s[20:23], 0 offen   // 000000009104: E07C1000 800594C0
	v_add_u32_e32 v192, 0xe0, v231                             // 00000000910C: 6981CEFF 000000E0
	buffer_store_dwordx4 v[152:155], v192, s[20:23], 0 offen   // 000000009114: E07C1000 800598C0
	v_pk_mul_f32 v[156:157], v[156:157], v[194:195]            // 00000000911C: D3B1409C 1803859C
	v_pk_mul_f32 v[158:159], v[158:159], v[194:195]            // 000000009124: D3B1409E 1803859E
	v_pk_mul_f32 v[160:161], v[160:161], v[194:195]            // 00000000912C: D3B140A0 180385A0
	v_pk_mul_f32 v[162:163], v[162:163], v[194:195]            // 000000009134: D3B140A2 180385A2
	v_pk_mul_f32 v[164:165], v[164:165], v[194:195]            // 00000000913C: D3B140A4 180385A4
	v_pk_mul_f32 v[166:167], v[166:167], v[194:195]            // 000000009144: D3B140A6 180385A6
	v_pk_mul_f32 v[168:169], v[168:169], v[194:195]            // 00000000914C: D3B140A8 180385A8
	v_pk_mul_f32 v[170:171], v[170:171], v[194:195]            // 000000009154: D3B140AA 180385AA
	v_add_u32_e32 v192, 0x100, v231                            // 00000000915C: 6981CEFF 00000100
	buffer_store_dwordx4 v[156:159], v192, s[20:23], 0 offen   // 000000009164: E07C1000 80059CC0
	v_add_u32_e32 v192, 0x120, v231                            // 00000000916C: 6981CEFF 00000120
	buffer_store_dwordx4 v[160:163], v192, s[20:23], 0 offen   // 000000009174: E07C1000 8005A0C0
	v_add_u32_e32 v192, 0x140, v231                            // 00000000917C: 6981CEFF 00000140
	buffer_store_dwordx4 v[164:167], v192, s[20:23], 0 offen   // 000000009184: E07C1000 8005A4C0
	v_add_u32_e32 v192, 0x160, v231                            // 00000000918C: 6981CEFF 00000160
	buffer_store_dwordx4 v[168:171], v192, s[20:23], 0 offen   // 000000009194: E07C1000 8005A8C0
	v_pk_mul_f32 v[172:173], v[172:173], v[194:195]            // 00000000919C: D3B140AC 180385AC
	v_pk_mul_f32 v[174:175], v[174:175], v[194:195]            // 0000000091A4: D3B140AE 180385AE
	v_pk_mul_f32 v[176:177], v[176:177], v[194:195]            // 0000000091AC: D3B140B0 180385B0
	v_pk_mul_f32 v[178:179], v[178:179], v[194:195]            // 0000000091B4: D3B140B2 180385B2
	v_pk_mul_f32 v[180:181], v[180:181], v[194:195]            // 0000000091BC: D3B140B4 180385B4
	v_pk_mul_f32 v[182:183], v[182:183], v[194:195]            // 0000000091C4: D3B140B6 180385B6
	v_pk_mul_f32 v[184:185], v[184:185], v[194:195]            // 0000000091CC: D3B140B8 180385B8
	v_pk_mul_f32 v[186:187], v[186:187], v[194:195]            // 0000000091D4: D3B140BA 180385BA
	v_add_u32_e32 v192, 0x180, v231                            // 0000000091DC: 6981CEFF 00000180
	buffer_store_dwordx4 v[172:175], v192, s[20:23], 0 offen   // 0000000091E4: E07C1000 8005ACC0
	v_add_u32_e32 v192, 0x1a0, v231                            // 0000000091EC: 6981CEFF 000001A0
	buffer_store_dwordx4 v[176:179], v192, s[20:23], 0 offen   // 0000000091F4: E07C1000 8005B0C0
	v_add_u32_e32 v192, 0x1c0, v231                            // 0000000091FC: 6981CEFF 000001C0
	buffer_store_dwordx4 v[180:183], v192, s[20:23], 0 offen   // 000000009204: E07C1000 8005B4C0
	v_add_u32_e32 v192, 0x1e0, v231                            // 00000000920C: 6981CEFF 000001E0
	buffer_store_dwordx4 v[184:187], v192, s[20:23], 0 offen   // 000000009214: E07C1000 8005B8C0

000000000000921c <label_1B87>:
	s_addk_i32 s66, 0x1                                        // 00000000921C: B7420001
	s_branch label_011C                                        // 000000009220: BF82E593

0000000000009224 <label_1B89>:
	s_waitcnt vmcnt(0) expcnt(0) lgkmcnt(0)                    // 000000009224: BF8C0000
	s_endpgm                                                   // 000000009228: BF810000
